;; amdgpu-corpus repo=ROCm/rocFFT kind=compiled arch=gfx906 opt=O3
	.text
	.amdgcn_target "amdgcn-amd-amdhsa--gfx906"
	.amdhsa_code_object_version 6
	.protected	fft_rtc_fwd_len3840_factors_10_6_2_2_2_2_2_2_wgs_128_tpt_128_halfLds_half_op_CI_CI_sbrr_dirReg ; -- Begin function fft_rtc_fwd_len3840_factors_10_6_2_2_2_2_2_2_wgs_128_tpt_128_halfLds_half_op_CI_CI_sbrr_dirReg
	.globl	fft_rtc_fwd_len3840_factors_10_6_2_2_2_2_2_2_wgs_128_tpt_128_halfLds_half_op_CI_CI_sbrr_dirReg
	.p2align	8
	.type	fft_rtc_fwd_len3840_factors_10_6_2_2_2_2_2_2_wgs_128_tpt_128_halfLds_half_op_CI_CI_sbrr_dirReg,@function
fft_rtc_fwd_len3840_factors_10_6_2_2_2_2_2_2_wgs_128_tpt_128_halfLds_half_op_CI_CI_sbrr_dirReg: ; @fft_rtc_fwd_len3840_factors_10_6_2_2_2_2_2_2_wgs_128_tpt_128_halfLds_half_op_CI_CI_sbrr_dirReg
; %bb.0:
	s_load_dwordx4 s[16:19], s[4:5], 0x18
	s_load_dwordx4 s[12:15], s[4:5], 0x0
	;; [unrolled: 1-line block ×3, first 2 shown]
	v_mov_b32_e32 v4, 0
	v_mov_b32_e32 v2, 0
	s_waitcnt lgkmcnt(0)
	s_load_dwordx2 s[20:21], s[16:17], 0x0
	s_load_dwordx2 s[2:3], s[18:19], 0x0
	v_cmp_lt_u64_e64 s[0:1], s[14:15], 2
	v_mov_b32_e32 v6, s6
	v_mov_b32_e32 v7, v4
	s_and_b64 vcc, exec, s[0:1]
	v_mov_b32_e32 v3, 0
	s_cbranch_vccnz .LBB0_8
; %bb.1:
	s_load_dwordx2 s[0:1], s[4:5], 0x10
	s_add_u32 s6, s18, 8
	s_addc_u32 s7, s19, 0
	s_add_u32 s22, s16, 8
	v_mov_b32_e32 v2, 0
	s_addc_u32 s23, s17, 0
	v_mov_b32_e32 v3, 0
	s_waitcnt lgkmcnt(0)
	s_add_u32 s24, s0, 8
	v_mov_b32_e32 v15, v3
	s_addc_u32 s25, s1, 0
	s_mov_b64 s[26:27], 1
	v_mov_b32_e32 v14, v2
.LBB0_2:                                ; =>This Inner Loop Header: Depth=1
	s_load_dwordx2 s[28:29], s[24:25], 0x0
                                        ; implicit-def: $vgpr16_vgpr17
	s_waitcnt lgkmcnt(0)
	v_or_b32_e32 v5, s29, v7
	v_cmp_ne_u64_e32 vcc, 0, v[4:5]
	s_and_saveexec_b64 s[0:1], vcc
	s_xor_b64 s[30:31], exec, s[0:1]
	s_cbranch_execz .LBB0_4
; %bb.3:                                ;   in Loop: Header=BB0_2 Depth=1
	v_cvt_f32_u32_e32 v1, s28
	v_cvt_f32_u32_e32 v5, s29
	s_sub_u32 s0, 0, s28
	s_subb_u32 s1, 0, s29
	v_mac_f32_e32 v1, 0x4f800000, v5
	v_rcp_f32_e32 v1, v1
	v_mul_f32_e32 v1, 0x5f7ffffc, v1
	v_mul_f32_e32 v5, 0x2f800000, v1
	v_trunc_f32_e32 v5, v5
	v_mac_f32_e32 v1, 0xcf800000, v5
	v_cvt_u32_f32_e32 v5, v5
	v_cvt_u32_f32_e32 v1, v1
	v_mul_lo_u32 v8, s0, v5
	v_mul_hi_u32 v9, s0, v1
	v_mul_lo_u32 v11, s1, v1
	v_mul_lo_u32 v10, s0, v1
	v_add_u32_e32 v8, v9, v8
	v_add_u32_e32 v8, v8, v11
	v_mul_hi_u32 v9, v1, v10
	v_mul_lo_u32 v11, v1, v8
	v_mul_hi_u32 v13, v1, v8
	v_mul_hi_u32 v12, v5, v10
	v_mul_lo_u32 v10, v5, v10
	v_mul_hi_u32 v16, v5, v8
	v_add_co_u32_e32 v9, vcc, v9, v11
	v_addc_co_u32_e32 v11, vcc, 0, v13, vcc
	v_mul_lo_u32 v8, v5, v8
	v_add_co_u32_e32 v9, vcc, v9, v10
	v_addc_co_u32_e32 v9, vcc, v11, v12, vcc
	v_addc_co_u32_e32 v10, vcc, 0, v16, vcc
	v_add_co_u32_e32 v8, vcc, v9, v8
	v_addc_co_u32_e32 v9, vcc, 0, v10, vcc
	v_add_co_u32_e32 v1, vcc, v1, v8
	v_addc_co_u32_e32 v5, vcc, v5, v9, vcc
	v_mul_lo_u32 v8, s0, v5
	v_mul_hi_u32 v9, s0, v1
	v_mul_lo_u32 v10, s1, v1
	v_mul_lo_u32 v11, s0, v1
	v_add_u32_e32 v8, v9, v8
	v_add_u32_e32 v8, v8, v10
	v_mul_lo_u32 v12, v1, v8
	v_mul_hi_u32 v13, v1, v11
	v_mul_hi_u32 v16, v1, v8
	;; [unrolled: 1-line block ×3, first 2 shown]
	v_mul_lo_u32 v11, v5, v11
	v_mul_hi_u32 v9, v5, v8
	v_add_co_u32_e32 v12, vcc, v13, v12
	v_addc_co_u32_e32 v13, vcc, 0, v16, vcc
	v_mul_lo_u32 v8, v5, v8
	v_add_co_u32_e32 v11, vcc, v12, v11
	v_addc_co_u32_e32 v10, vcc, v13, v10, vcc
	v_addc_co_u32_e32 v9, vcc, 0, v9, vcc
	v_add_co_u32_e32 v8, vcc, v10, v8
	v_addc_co_u32_e32 v9, vcc, 0, v9, vcc
	v_add_co_u32_e32 v1, vcc, v1, v8
	v_addc_co_u32_e32 v5, vcc, v5, v9, vcc
	v_mad_u64_u32 v[8:9], s[0:1], v6, v5, 0
	v_mul_hi_u32 v10, v6, v1
	v_add_co_u32_e32 v12, vcc, v10, v8
	v_addc_co_u32_e32 v13, vcc, 0, v9, vcc
	v_mad_u64_u32 v[8:9], s[0:1], v7, v1, 0
	v_mad_u64_u32 v[10:11], s[0:1], v7, v5, 0
	v_add_co_u32_e32 v1, vcc, v12, v8
	v_addc_co_u32_e32 v1, vcc, v13, v9, vcc
	v_addc_co_u32_e32 v5, vcc, 0, v11, vcc
	v_add_co_u32_e32 v1, vcc, v1, v10
	v_addc_co_u32_e32 v5, vcc, 0, v5, vcc
	v_mul_lo_u32 v10, s29, v1
	v_mul_lo_u32 v11, s28, v5
	v_mad_u64_u32 v[8:9], s[0:1], s28, v1, 0
	v_add3_u32 v9, v9, v11, v10
	v_sub_u32_e32 v10, v7, v9
	v_mov_b32_e32 v11, s29
	v_sub_co_u32_e32 v8, vcc, v6, v8
	v_subb_co_u32_e64 v10, s[0:1], v10, v11, vcc
	v_subrev_co_u32_e64 v11, s[0:1], s28, v8
	v_subbrev_co_u32_e64 v10, s[0:1], 0, v10, s[0:1]
	v_cmp_le_u32_e64 s[0:1], s29, v10
	v_cndmask_b32_e64 v12, 0, -1, s[0:1]
	v_cmp_le_u32_e64 s[0:1], s28, v11
	v_cndmask_b32_e64 v11, 0, -1, s[0:1]
	v_cmp_eq_u32_e64 s[0:1], s29, v10
	v_cndmask_b32_e64 v10, v12, v11, s[0:1]
	v_add_co_u32_e64 v11, s[0:1], 2, v1
	v_addc_co_u32_e64 v12, s[0:1], 0, v5, s[0:1]
	v_add_co_u32_e64 v13, s[0:1], 1, v1
	v_addc_co_u32_e64 v16, s[0:1], 0, v5, s[0:1]
	v_subb_co_u32_e32 v9, vcc, v7, v9, vcc
	v_cmp_ne_u32_e64 s[0:1], 0, v10
	v_cmp_le_u32_e32 vcc, s29, v9
	v_cndmask_b32_e64 v10, v16, v12, s[0:1]
	v_cndmask_b32_e64 v12, 0, -1, vcc
	v_cmp_le_u32_e32 vcc, s28, v8
	v_cndmask_b32_e64 v8, 0, -1, vcc
	v_cmp_eq_u32_e32 vcc, s29, v9
	v_cndmask_b32_e32 v8, v12, v8, vcc
	v_cmp_ne_u32_e32 vcc, 0, v8
	v_cndmask_b32_e32 v17, v5, v10, vcc
	v_cndmask_b32_e64 v5, v13, v11, s[0:1]
	v_cndmask_b32_e32 v16, v1, v5, vcc
.LBB0_4:                                ;   in Loop: Header=BB0_2 Depth=1
	s_andn2_saveexec_b64 s[0:1], s[30:31]
	s_cbranch_execz .LBB0_6
; %bb.5:                                ;   in Loop: Header=BB0_2 Depth=1
	v_cvt_f32_u32_e32 v1, s28
	s_sub_i32 s30, 0, s28
	v_mov_b32_e32 v17, v4
	v_rcp_iflag_f32_e32 v1, v1
	v_mul_f32_e32 v1, 0x4f7ffffe, v1
	v_cvt_u32_f32_e32 v1, v1
	v_mul_lo_u32 v5, s30, v1
	v_mul_hi_u32 v5, v1, v5
	v_add_u32_e32 v1, v1, v5
	v_mul_hi_u32 v1, v6, v1
	v_mul_lo_u32 v5, v1, s28
	v_add_u32_e32 v8, 1, v1
	v_sub_u32_e32 v5, v6, v5
	v_subrev_u32_e32 v9, s28, v5
	v_cmp_le_u32_e32 vcc, s28, v5
	v_cndmask_b32_e32 v5, v5, v9, vcc
	v_cndmask_b32_e32 v1, v1, v8, vcc
	v_add_u32_e32 v8, 1, v1
	v_cmp_le_u32_e32 vcc, s28, v5
	v_cndmask_b32_e32 v16, v1, v8, vcc
.LBB0_6:                                ;   in Loop: Header=BB0_2 Depth=1
	s_or_b64 exec, exec, s[0:1]
	v_mul_lo_u32 v1, v17, s28
	v_mul_lo_u32 v5, v16, s29
	v_mad_u64_u32 v[8:9], s[0:1], v16, s28, 0
	s_load_dwordx2 s[0:1], s[22:23], 0x0
	s_load_dwordx2 s[28:29], s[6:7], 0x0
	v_add3_u32 v1, v9, v5, v1
	v_sub_co_u32_e32 v5, vcc, v6, v8
	v_subb_co_u32_e32 v1, vcc, v7, v1, vcc
	s_waitcnt lgkmcnt(0)
	v_mul_lo_u32 v6, s0, v1
	v_mul_lo_u32 v7, s1, v5
	v_mad_u64_u32 v[2:3], s[0:1], s0, v5, v[2:3]
	s_add_u32 s26, s26, 1
	s_addc_u32 s27, s27, 0
	s_add_u32 s6, s6, 8
	v_mul_lo_u32 v1, s28, v1
	v_mul_lo_u32 v8, s29, v5
	v_mad_u64_u32 v[14:15], s[0:1], s28, v5, v[14:15]
	v_add3_u32 v3, v7, v3, v6
	s_addc_u32 s7, s7, 0
	v_mov_b32_e32 v5, s14
	s_add_u32 s22, s22, 8
	v_mov_b32_e32 v6, s15
	s_addc_u32 s23, s23, 0
	v_cmp_ge_u64_e32 vcc, s[26:27], v[5:6]
	s_add_u32 s24, s24, 8
	v_add3_u32 v15, v8, v15, v1
	s_addc_u32 s25, s25, 0
	s_cbranch_vccnz .LBB0_9
; %bb.7:                                ;   in Loop: Header=BB0_2 Depth=1
	v_mov_b32_e32 v6, v16
	v_mov_b32_e32 v7, v17
	s_branch .LBB0_2
.LBB0_8:
	v_mov_b32_e32 v15, v3
	v_mov_b32_e32 v17, v7
	;; [unrolled: 1-line block ×4, first 2 shown]
.LBB0_9:
	s_load_dwordx2 s[0:1], s[4:5], 0x28
	s_lshl_b64 s[14:15], s[14:15], 3
	s_add_u32 s4, s18, s14
	s_addc_u32 s5, s19, s15
                                        ; implicit-def: $vgpr22
                                        ; implicit-def: $vgpr28
                                        ; implicit-def: $vgpr38
                                        ; implicit-def: $vgpr24
                                        ; implicit-def: $vgpr34
                                        ; implicit-def: $vgpr36
                                        ; implicit-def: $vgpr32
                                        ; implicit-def: $vgpr18
                                        ; implicit-def: $vgpr27
                                        ; implicit-def: $vgpr19
                                        ; implicit-def: $vgpr30
                                        ; implicit-def: $vgpr20
                                        ; implicit-def: $vgpr25
                                        ; implicit-def: $vgpr31
	s_waitcnt lgkmcnt(0)
	v_cmp_gt_u64_e32 vcc, s[0:1], v[16:17]
	v_cmp_le_u64_e64 s[0:1], s[0:1], v[16:17]
	s_and_saveexec_b64 s[6:7], s[0:1]
	s_xor_b64 s[0:1], exec, s[6:7]
	s_cbranch_execz .LBB0_11
; %bb.10:
	v_mov_b32_e32 v1, 0
	v_or_b32_e32 v22, 0x80, v0
	v_or_b32_e32 v28, 0x100, v0
	;; [unrolled: 1-line block ×13, first 2 shown]
	v_mov_b32_e32 v23, v1
	v_mov_b32_e32 v29, v1
	;; [unrolled: 1-line block ×6, first 2 shown]
	v_or_b32_e32 v31, 0x700, v0
                                        ; implicit-def: $vgpr2_vgpr3
.LBB0_11:
	s_or_saveexec_b64 s[6:7], s[0:1]
                                        ; implicit-def: $vgpr44
                                        ; implicit-def: $vgpr4
                                        ; implicit-def: $vgpr45
                                        ; implicit-def: $vgpr8
                                        ; implicit-def: $vgpr46
                                        ; implicit-def: $vgpr7
                                        ; implicit-def: $vgpr47
                                        ; implicit-def: $vgpr6
                                        ; implicit-def: $vgpr48
                                        ; implicit-def: $vgpr26
                                        ; implicit-def: $vgpr95
                                        ; implicit-def: $vgpr40
                                        ; implicit-def: $vgpr96
                                        ; implicit-def: $vgpr13
                                        ; implicit-def: $vgpr97
                                        ; implicit-def: $vgpr12
                                        ; implicit-def: $vgpr98
                                        ; implicit-def: $vgpr5
                                        ; implicit-def: $vgpr99
                                        ; implicit-def: $vgpr87
                                        ; implicit-def: $vgpr89
                                        ; implicit-def: $vgpr41
                                        ; implicit-def: $vgpr91
                                        ; implicit-def: $vgpr77
                                        ; implicit-def: $vgpr92
                                        ; implicit-def: $vgpr78
                                        ; implicit-def: $vgpr93
                                        ; implicit-def: $vgpr84
                                        ; implicit-def: $vgpr94
                                        ; implicit-def: $vgpr90
                                        ; implicit-def: $vgpr85
                                        ; implicit-def: $vgpr71
                                        ; implicit-def: $vgpr86
                                        ; implicit-def: $vgpr83
                                        ; implicit-def: $vgpr49
                                        ; implicit-def: $vgpr55
                                        ; implicit-def: $vgpr56
                                        ; implicit-def: $vgpr88
                                        ; implicit-def: $vgpr70
                                        ; implicit-def: $vgpr43
                                        ; implicit-def: $vgpr11
                                        ; implicit-def: $vgpr21
                                        ; implicit-def: $vgpr10
                                        ; implicit-def: $vgpr42
                                        ; implicit-def: $vgpr9
	s_xor_b64 exec, exec, s[6:7]
	s_cbranch_execz .LBB0_13
; %bb.12:
	s_add_u32 s0, s16, s14
	s_addc_u32 s1, s17, s15
	s_load_dwordx2 s[0:1], s[0:1], 0x0
	v_mad_u64_u32 v[4:5], s[14:15], s20, v0, 0
	v_or_b32_e32 v34, 0x180, v0
	v_or_b32_e32 v32, 0x300, v0
	s_waitcnt lgkmcnt(0)
	v_mul_lo_u32 v10, s1, v16
	v_mul_lo_u32 v11, s0, v17
	v_mad_u64_u32 v[6:7], s[0:1], s0, v16, 0
	v_mov_b32_e32 v1, v5
	v_mad_u64_u32 v[8:9], s[0:1], s21, v0, v[1:2]
	v_add3_u32 v7, v7, v11, v10
	v_lshlrev_b64 v[6:7], 2, v[6:7]
	v_mov_b32_e32 v1, s9
	v_add_co_u32_e64 v6, s[0:1], s8, v6
	v_addc_co_u32_e64 v7, s[0:1], v1, v7, s[0:1]
	v_lshlrev_b64 v[1:2], 2, v[2:3]
	v_mov_b32_e32 v5, v8
	v_add_co_u32_e64 v1, s[0:1], v6, v1
	v_lshlrev_b64 v[3:4], 2, v[4:5]
	v_addc_co_u32_e64 v2, s[0:1], v7, v2, s[0:1]
	v_mad_u64_u32 v[5:6], s[0:1], s20, v34, 0
	v_add_co_u32_e64 v3, s[0:1], v1, v3
	v_addc_co_u32_e64 v4, s[0:1], v2, v4, s[0:1]
	global_load_dword v4, v[3:4], off
	v_mad_u64_u32 v[6:7], s[0:1], s21, v34, v[6:7]
	v_mad_u64_u32 v[7:8], s[0:1], s20, v32, 0
	v_or_b32_e32 v19, 0x480, v0
	v_lshlrev_b64 v[5:6], 2, v[5:6]
	v_mov_b32_e32 v3, v8
	v_or_b32_e32 v20, 0x600, v0
	v_or_b32_e32 v18, 0xa80, v0
	s_waitcnt vmcnt(0)
	v_mad_u64_u32 v[8:9], s[0:1], s21, v32, v[3:4]
	v_mad_u64_u32 v[9:10], s[0:1], s20, v19, 0
	v_add_co_u32_e64 v12, s[0:1], v1, v5
	v_mov_b32_e32 v3, v10
	v_addc_co_u32_e64 v13, s[0:1], v2, v6, s[0:1]
	v_lshlrev_b64 v[5:6], 2, v[7:8]
	v_mad_u64_u32 v[7:8], s[0:1], s21, v19, v[3:4]
	v_mad_u64_u32 v[21:22], s[0:1], s20, v20, 0
	v_add_co_u32_e64 v23, s[0:1], v1, v5
	v_mov_b32_e32 v10, v7
	v_mov_b32_e32 v3, v22
	v_addc_co_u32_e64 v24, s[0:1], v2, v6, s[0:1]
	v_lshlrev_b64 v[5:6], 2, v[9:10]
	v_mad_u64_u32 v[7:8], s[0:1], s21, v20, v[3:4]
	v_or_b32_e32 v10, 0x780, v0
	v_mad_u64_u32 v[8:9], s[0:1], s20, v10, 0
	v_add_co_u32_e64 v25, s[0:1], v1, v5
	v_mov_b32_e32 v3, v9
	v_addc_co_u32_e64 v26, s[0:1], v2, v6, s[0:1]
	v_mov_b32_e32 v22, v7
	v_mad_u64_u32 v[9:10], s[0:1], s21, v10, v[3:4]
	v_or_b32_e32 v7, 0x900, v0
	v_mad_u64_u32 v[10:11], s[0:1], s20, v7, 0
	v_lshlrev_b64 v[5:6], 2, v[21:22]
	v_or_b32_e32 v22, 0x80, v0
	v_add_co_u32_e64 v27, s[0:1], v1, v5
	v_mov_b32_e32 v3, v11
	v_addc_co_u32_e64 v28, s[0:1], v2, v6, s[0:1]
	v_lshlrev_b64 v[5:6], 2, v[8:9]
	v_mad_u64_u32 v[7:8], s[0:1], s21, v7, v[3:4]
	v_mad_u64_u32 v[8:9], s[0:1], s20, v18, 0
	v_add_co_u32_e64 v29, s[0:1], v1, v5
	v_mov_b32_e32 v11, v7
	v_mov_b32_e32 v3, v9
	v_addc_co_u32_e64 v30, s[0:1], v2, v6, s[0:1]
	v_lshlrev_b64 v[5:6], 2, v[10:11]
	v_mad_u64_u32 v[9:10], s[0:1], s21, v18, v[3:4]
	v_or_b32_e32 v7, 0xc00, v0
	v_mad_u64_u32 v[10:11], s[0:1], s20, v7, 0
	v_add_co_u32_e64 v35, s[0:1], v1, v5
	v_mov_b32_e32 v3, v11
	v_addc_co_u32_e64 v36, s[0:1], v2, v6, s[0:1]
	v_lshlrev_b64 v[5:6], 2, v[8:9]
	v_mad_u64_u32 v[7:8], s[0:1], s21, v7, v[3:4]
	v_or_b32_e32 v18, 0xd80, v0
	v_mad_u64_u32 v[8:9], s[0:1], s20, v18, 0
	v_add_co_u32_e64 v37, s[0:1], v1, v5
	v_mov_b32_e32 v11, v7
	v_mov_b32_e32 v3, v9
	v_addc_co_u32_e64 v38, s[0:1], v2, v6, s[0:1]
	v_lshlrev_b64 v[5:6], 2, v[10:11]
	v_mad_u64_u32 v[9:10], s[0:1], s21, v18, v[3:4]
	v_add_co_u32_e64 v43, s[0:1], v1, v5
	v_addc_co_u32_e64 v44, s[0:1], v2, v6, s[0:1]
	v_lshlrev_b64 v[5:6], 2, v[8:9]
	v_or_b32_e32 v18, 0x380, v0
	v_add_co_u32_e64 v45, s[0:1], v1, v5
	v_addc_co_u32_e64 v46, s[0:1], v2, v6, s[0:1]
	v_mad_u64_u32 v[39:40], s[0:1], s20, v22, 0
	global_load_dword v10, v[37:38], off
	global_load_dword v6, v[35:36], off
	;; [unrolled: 1-line block ×3, first 2 shown]
	v_or_b32_e32 v36, 0x200, v0
	v_mov_b32_e32 v3, v40
	v_mad_u64_u32 v[29:30], s[0:1], s21, v22, v[3:4]
	global_load_dword v7, v[27:28], off
	global_load_dword v21, v[25:26], off
	;; [unrolled: 1-line block ×4, first 2 shown]
	v_mad_u64_u32 v[23:24], s[0:1], s20, v36, 0
	v_mov_b32_e32 v40, v29
	v_lshlrev_b64 v[12:13], 2, v[39:40]
	v_mov_b32_e32 v3, v24
	v_add_co_u32_e64 v12, s[0:1], v1, v12
	v_addc_co_u32_e64 v13, s[0:1], v2, v13, s[0:1]
	v_mad_u64_u32 v[27:28], s[0:1], s20, v18, 0
	v_mad_u64_u32 v[24:25], s[0:1], s21, v36, v[3:4]
	v_mov_b32_e32 v3, v28
	global_load_dword v26, v[43:44], off
	global_load_dword v42, v[45:46], off
	;; [unrolled: 1-line block ×3, first 2 shown]
	v_lshlrev_b64 v[12:13], 2, v[23:24]
	v_mad_u64_u32 v[23:24], s[0:1], s21, v18, v[3:4]
	v_or_b32_e32 v24, 0x500, v0
	v_mad_u64_u32 v[29:30], s[0:1], s20, v24, 0
	v_add_co_u32_e64 v37, s[0:1], v1, v12
	v_or_b32_e32 v25, 0x680, v0
	v_addc_co_u32_e64 v38, s[0:1], v2, v13, s[0:1]
	v_mov_b32_e32 v28, v23
	v_mov_b32_e32 v3, v30
	v_mad_u64_u32 v[43:44], s[0:1], s20, v25, 0
	v_lshlrev_b64 v[12:13], 2, v[27:28]
	v_mad_u64_u32 v[27:28], s[0:1], s21, v24, v[3:4]
	v_add_co_u32_e64 v45, s[0:1], v1, v12
	v_mov_b32_e32 v3, v44
	v_addc_co_u32_e64 v46, s[0:1], v2, v13, s[0:1]
	v_mov_b32_e32 v30, v27
	v_mad_u64_u32 v[27:28], s[0:1], s21, v25, v[3:4]
	v_or_b32_e32 v5, 0x800, v0
	v_lshlrev_b64 v[12:13], 2, v[29:30]
	v_mad_u64_u32 v[28:29], s[0:1], s20, v5, 0
	v_add_co_u32_e64 v30, s[0:1], v1, v12
	v_mov_b32_e32 v44, v27
	v_mov_b32_e32 v3, v29
	v_addc_co_u32_e64 v31, s[0:1], v2, v13, s[0:1]
	v_lshlrev_b64 v[12:13], 2, v[43:44]
	v_mad_u64_u32 v[43:44], s[0:1], s21, v5, v[3:4]
	v_or_b32_e32 v5, 0x980, v0
	v_mad_u64_u32 v[47:48], s[0:1], s20, v5, 0
	v_add_co_u32_e64 v49, s[0:1], v1, v12
	v_mov_b32_e32 v29, v43
	v_mov_b32_e32 v3, v48
	v_addc_co_u32_e64 v50, s[0:1], v2, v13, s[0:1]
	v_lshlrev_b64 v[12:13], 2, v[28:29]
	v_mad_u64_u32 v[27:28], s[0:1], s21, v5, v[3:4]
	v_add_co_u32_e64 v12, s[0:1], v1, v12
	v_or_b32_e32 v5, 0xb00, v0
	v_addc_co_u32_e64 v13, s[0:1], v2, v13, s[0:1]
	v_mad_u64_u32 v[43:44], s[0:1], s20, v5, 0
	v_mov_b32_e32 v48, v27
	v_lshlrev_b64 v[27:28], 2, v[47:48]
	v_mov_b32_e32 v3, v44
	v_add_co_u32_e64 v27, s[0:1], v1, v27
	v_or_b32_e32 v23, 0xc80, v0
	v_addc_co_u32_e64 v28, s[0:1], v2, v28, s[0:1]
	v_mad_u64_u32 v[47:48], s[0:1], s21, v5, v[3:4]
	v_mad_u64_u32 v[51:52], s[0:1], s20, v23, 0
	v_mov_b32_e32 v44, v47
	global_load_dword v5, v[27:28], off
	global_load_dword v55, v[12:13], off
	v_mov_b32_e32 v3, v52
	v_lshlrev_b64 v[27:28], 2, v[43:44]
	v_mad_u64_u32 v[43:44], s[0:1], s21, v23, v[3:4]
	v_or_b32_e32 v23, 0xe00, v0
	v_mad_u64_u32 v[47:48], s[0:1], s20, v23, 0
	v_add_co_u32_e64 v53, s[0:1], v1, v27
	v_mov_b32_e32 v3, v48
	v_addc_co_u32_e64 v54, s[0:1], v2, v28, s[0:1]
	v_mov_b32_e32 v52, v43
	v_mad_u64_u32 v[43:44], s[0:1], s21, v23, v[3:4]
	v_lshlrev_b64 v[27:28], 2, v[51:52]
	v_or_b32_e32 v23, 0x880, v0
	v_add_co_u32_e64 v51, s[0:1], v1, v27
	v_addc_co_u32_e64 v52, s[0:1], v2, v28, s[0:1]
	v_mov_b32_e32 v48, v43
	v_or_b32_e32 v28, 0x100, v0
	v_lshlrev_b64 v[43:44], 2, v[47:48]
	v_mad_u64_u32 v[47:48], s[0:1], s20, v28, 0
	v_add_co_u32_e64 v57, s[0:1], v1, v43
	v_mov_b32_e32 v3, v48
	v_addc_co_u32_e64 v58, s[0:1], v2, v44, s[0:1]
	v_mad_u64_u32 v[59:60], s[0:1], s21, v28, v[3:4]
	global_load_dword v12, v[49:50], off
	global_load_dword v56, v[30:31], off
	;; [unrolled: 1-line block ×4, first 2 shown]
	v_or_b32_e32 v38, 0x280, v0
	v_mad_u64_u32 v[44:45], s[0:1], s20, v38, 0
	v_mov_b32_e32 v48, v59
	v_lshlrev_b64 v[29:30], 2, v[47:48]
	v_mov_b32_e32 v3, v45
	v_add_co_u32_e64 v29, s[0:1], v1, v29
	v_addc_co_u32_e64 v30, s[0:1], v2, v30, s[0:1]
	v_mad_u64_u32 v[45:46], s[0:1], s21, v38, v[3:4]
	v_or_b32_e32 v27, 0x400, v0
	v_mad_u64_u32 v[46:47], s[0:1], s20, v27, 0
	global_load_dword v70, v[57:58], off
	global_load_dword v41, v[29:30], off
	v_lshlrev_b64 v[44:45], 2, v[44:45]
	v_mov_b32_e32 v3, v47
	v_mad_u64_u32 v[29:30], s[0:1], s21, v27, v[3:4]
	v_or_b32_e32 v30, 0x580, v0
	v_mad_u64_u32 v[48:49], s[0:1], s20, v30, 0
	v_mov_b32_e32 v47, v29
	v_add_co_u32_e64 v44, s[0:1], v1, v44
	v_lshlrev_b64 v[46:47], 2, v[46:47]
	v_mov_b32_e32 v3, v49
	v_addc_co_u32_e64 v45, s[0:1], v2, v45, s[0:1]
	v_mad_u64_u32 v[49:50], s[0:1], s21, v30, v[3:4]
	v_add_co_u32_e64 v46, s[0:1], v1, v46
	v_or_b32_e32 v31, 0x700, v0
	v_addc_co_u32_e64 v47, s[0:1], v2, v47, s[0:1]
	v_mad_u64_u32 v[57:58], s[0:1], s20, v31, 0
	v_lshlrev_b64 v[48:49], 2, v[48:49]
	s_waitcnt vmcnt(8)
	v_lshrrev_b32_e32 v95, 16, v40
	v_add_co_u32_e64 v59, s[0:1], v1, v48
	v_mov_b32_e32 v3, v58
	v_addc_co_u32_e64 v60, s[0:1], v2, v49, s[0:1]
	v_mad_u64_u32 v[48:49], s[0:1], s21, v31, v[3:4]
	global_load_dword v71, v[59:60], off
	global_load_dword v77, v[46:47], off
	;; [unrolled: 1-line block ×5, first 2 shown]
	v_mad_u64_u32 v[46:47], s[0:1], s20, v23, 0
	v_mov_b32_e32 v58, v48
	v_lshlrev_b64 v[44:45], 2, v[57:58]
	v_mov_b32_e32 v3, v47
	v_add_co_u32_e64 v44, s[0:1], v1, v44
	v_addc_co_u32_e64 v45, s[0:1], v2, v45, s[0:1]
	v_mad_u64_u32 v[47:48], s[0:1], s21, v23, v[3:4]
	v_or_b32_e32 v23, 0xa00, v0
	v_mad_u64_u32 v[50:51], s[0:1], s20, v23, 0
	global_load_dword v78, v[44:45], off
	v_lshlrev_b64 v[44:45], 2, v[46:47]
	v_mov_b32_e32 v3, v51
	v_mad_u64_u32 v[46:47], s[0:1], s21, v23, v[3:4]
	v_add_co_u32_e64 v44, s[0:1], v1, v44
	v_mov_b32_e32 v51, v46
	v_or_b32_e32 v23, 0xb80, v0
	v_addc_co_u32_e64 v45, s[0:1], v2, v45, s[0:1]
	v_lshlrev_b64 v[46:47], 2, v[50:51]
	v_mad_u64_u32 v[50:51], s[0:1], s20, v23, 0
	v_add_co_u32_e64 v46, s[0:1], v1, v46
	v_mov_b32_e32 v3, v51
	v_addc_co_u32_e64 v47, s[0:1], v2, v47, s[0:1]
	v_mad_u64_u32 v[51:52], s[0:1], s21, v23, v[3:4]
	v_or_b32_e32 v23, 0xd00, v0
	v_mad_u64_u32 v[52:53], s[0:1], s20, v23, 0
	global_load_dword v84, v[46:47], off
	v_lshlrev_b64 v[46:47], 2, v[50:51]
	v_mov_b32_e32 v3, v53
	v_mad_u64_u32 v[50:51], s[0:1], s21, v23, v[3:4]
	v_or_b32_e32 v23, 0xe80, v0
	v_mad_u64_u32 v[57:58], s[0:1], s20, v23, 0
	v_add_co_u32_e64 v46, s[0:1], v1, v46
	v_mov_b32_e32 v53, v50
	v_mov_b32_e32 v3, v58
	v_addc_co_u32_e64 v47, s[0:1], v2, v47, s[0:1]
	v_lshlrev_b64 v[50:51], 2, v[52:53]
	v_mad_u64_u32 v[52:53], s[0:1], s21, v23, v[3:4]
	v_add_co_u32_e64 v50, s[0:1], v1, v50
	v_mov_b32_e32 v58, v52
	v_lshlrev_b64 v[52:53], 2, v[57:58]
	v_addc_co_u32_e64 v51, s[0:1], v2, v51, s[0:1]
	v_add_co_u32_e64 v1, s[0:1], v1, v52
	v_addc_co_u32_e64 v2, s[0:1], v2, v53, s[0:1]
	global_load_dword v83, v[1:2], off
	global_load_dword v90, v[50:51], off
	;; [unrolled: 1-line block ×4, first 2 shown]
	v_mov_b32_e32 v1, 0
	v_lshrrev_b32_e32 v44, 16, v4
	v_mov_b32_e32 v35, v1
	v_mov_b32_e32 v33, v1
	v_lshrrev_b32_e32 v45, 16, v8
	v_lshrrev_b32_e32 v46, 16, v7
	;; [unrolled: 1-line block ×4, first 2 shown]
	v_mov_b32_e32 v23, v1
	v_mov_b32_e32 v37, v1
	s_waitcnt vmcnt(14)
	v_lshrrev_b32_e32 v96, 16, v13
	v_lshrrev_b32_e32 v97, 16, v12
	;; [unrolled: 1-line block ×3, first 2 shown]
	s_waitcnt vmcnt(7)
	v_lshrrev_b32_e32 v99, 16, v87
	v_mov_b32_e32 v29, v1
	v_lshrrev_b32_e32 v89, 16, v41
	v_mov_b32_e32 v39, v1
	v_lshrrev_b32_e32 v91, 16, v77
	s_waitcnt vmcnt(5)
	v_lshrrev_b32_e32 v92, 16, v78
	s_waitcnt vmcnt(4)
	;; [unrolled: 2-line block ×3, first 2 shown]
	v_lshrrev_b32_e32 v94, 16, v90
.LBB0_13:
	s_or_b64 exec, exec, s[6:7]
	v_add_f16_e32 v2, v7, v6
	v_fma_f16 v2, v2, -0.5, v4
	v_sub_f16_e32 v50, v45, v48
	s_movk_i32 s0, 0x3b9c
	v_sub_f16_e32 v51, v8, v7
	v_sub_f16_e32 v52, v26, v6
	s_mov_b32 s7, 0xbb9c
	v_fma_f16 v3, v50, s0, v2
	v_add_f16_e32 v52, v51, v52
	v_sub_f16_e32 v51, v46, v47
	s_movk_i32 s6, 0x38b4
	v_fma_f16 v2, v50, s7, v2
	s_mov_b32 s1, 0xb8b4
	v_fma_f16 v3, v51, s6, v3
	s_movk_i32 s8, 0x34f2
	v_fma_f16 v2, v51, s1, v2
	v_fma_f16 v59, v52, s8, v3
	;; [unrolled: 1-line block ×3, first 2 shown]
	v_pk_add_f16 v2, v21, v11 neg_lo:[0,1] neg_hi:[0,1]
	v_pk_add_f16 v3, v42, v10 neg_lo:[0,1] neg_hi:[0,1]
	v_pk_add_f16 v2, v2, v3
	v_add_f16_e32 v3, v11, v10
	v_pk_add_f16 v52, v21, v42 neg_lo:[0,1] neg_hi:[0,1]
	v_fma_f16 v3, v3, -0.5, v9
	v_lshrrev_b32_e32 v53, 16, v52
	v_fma_f16 v54, v53, s0, v3
	v_fma_f16 v3, v53, s7, v3
	s_mov_b32 s9, 0xffff
	v_pk_add_f16 v53, v11, v10 neg_lo:[0,1] neg_hi:[0,1]
	v_bfi_b32 v2, s9, v2, v53
	s_mov_b32 s15, 0x38b434f2
	v_pk_mul_f16 v2, v2, s15
	v_add_f16_sdwa v54, v2, v54 dst_sel:DWORD dst_unused:UNUSED_PAD src0_sel:WORD_1 src1_sel:DWORD
	v_sub_f16_sdwa v3, v3, v2 dst_sel:DWORD dst_unused:UNUSED_PAD src0_sel:DWORD src1_sel:WORD_1
	v_add_f16_e32 v54, v2, v54
	v_add_f16_e32 v2, v2, v3
	v_sub_f16_sdwa v3, v21, v11 dst_sel:DWORD dst_unused:UNUSED_PAD src0_sel:WORD_1 src1_sel:WORD_1
	v_sub_f16_sdwa v57, v42, v10 dst_sel:DWORD dst_unused:UNUSED_PAD src0_sel:WORD_1 src1_sel:WORD_1
	v_add_f16_e32 v3, v3, v57
	v_lshrrev_b32_e32 v58, 16, v9
	v_add_f16_sdwa v57, v11, v10 dst_sel:DWORD dst_unused:UNUSED_PAD src0_sel:WORD_1 src1_sel:WORD_1
	v_fma_f16 v61, v57, -0.5, v58
	v_fma_f16 v57, v52, s7, v61
	v_fma_f16 v61, v52, s0, v61
	;; [unrolled: 1-line block ×6, first 2 shown]
	v_add_f16_e32 v61, v4, v8
	v_add_f16_e32 v62, v9, v21
	;; [unrolled: 1-line block ×9, first 2 shown]
	v_sub_f16_e32 v61, v61, v62
	s_movk_i32 s14, 0x3a79
	v_mul_f16_e32 v62, 0x38b4, v57
	v_fma_f16 v62, v54, s14, v62
	v_add_f16_e32 v64, v59, v62
	v_sub_f16_e32 v59, v59, v62
	v_mul_f16_e32 v62, 0x3a79, v2
	v_fma_f16 v62, v3, s6, -v62
	v_add_f16_e32 v65, v60, v62
	v_pack_b32_f16 v63, v63, v64
	v_mul_u32_u24_e32 v64, 10, v0
	v_sub_f16_e32 v60, v60, v62
	v_lshl_add_u32 v100, v64, 1, 0
	v_pack_b32_f16 v61, v65, v61
	ds_write_b32 v100, v63
	ds_write_b32 v100, v61 offset:8
	ds_write_b16 v100, v59 offset:12
	ds_write_b16 v100, v60 offset:18
	v_pk_add_f16 v59, v55, v56 neg_lo:[0,1] neg_hi:[0,1]
	v_pk_add_f16 v60, v88, v70 neg_lo:[0,1] neg_hi:[0,1]
	v_pk_add_f16 v59, v59, v60
	v_pk_add_f16 v60, v56, v70
	v_pk_add_f16 v61, v55, v88 neg_lo:[0,1] neg_hi:[0,1]
	v_pk_fma_f16 v60, v60, 0.5, v43 op_sel_hi:[1,0,1] neg_lo:[1,0,0] neg_hi:[1,0,0]
	v_pk_mul_f16 v63, v61, s0 op_sel_hi:[1,0]
	v_sub_f16_e32 v62, v13, v12
	v_sub_f16_e32 v66, v87, v5
	v_pk_add_f16 v64, v63, v60 op_sel:[1,0] op_sel_hi:[0,1]
	v_pk_add_f16 v60, v60, v63 op_sel:[0,1] op_sel_hi:[1,0] neg_lo:[0,1] neg_hi:[0,1]
	v_pk_add_f16 v63, v56, v70 neg_lo:[0,1] neg_hi:[0,1]
	v_add_f16_e32 v62, v62, v66
	v_sub_f16_e32 v66, v12, v13
	v_sub_f16_e32 v67, v5, v87
	v_pk_mul_f16 v65, v63, s6 op_sel_hi:[1,0]
	v_add_f16_e32 v66, v66, v67
	v_add_f16_e32 v67, v13, v87
	v_pk_add_f16 v64, v64, v65 op_sel:[0,1] op_sel_hi:[1,0] neg_lo:[0,1] neg_hi:[0,1]
	v_pk_add_f16 v60, v65, v60 op_sel:[1,0] op_sel_hi:[0,1]
	v_fma_f16 v67, v67, -0.5, v40
	v_sub_f16_e32 v69, v97, v98
	v_pk_fma_f16 v101, v59, s8, v64 op_sel_hi:[1,0,1]
	v_pk_fma_f16 v102, v59, s8, v60 op_sel_hi:[1,0,1]
	v_sub_f16_e32 v68, v96, v99
	v_fma_f16 v72, v69, s7, v67
	v_fma_f16 v67, v69, s0, v67
	v_mul_f16_e32 v59, 0x34f2, v102
	v_lshrrev_b32_e32 v60, 16, v101
	v_fma_f16 v72, v68, s6, v72
	v_fma_f16 v67, v68, s1, v67
	;; [unrolled: 1-line block ×3, first 2 shown]
	v_mul_f16_e32 v60, 0x34f2, v101
	v_lshrrev_b32_e32 v64, 16, v102
	v_fma_f16 v72, v66, s8, v72
	v_fma_f16 v66, v66, s8, v67
	v_fma_f16 v60, v64, s0, -v60
	v_add_f16_e32 v64, v72, v59
	v_add_f16_e32 v65, v66, v60
	v_pack_b32_f16 v64, v64, v65
	v_add_f16_e32 v65, v12, v5
	v_fma_f16 v65, v65, -0.5, v40
	v_add_f16_e32 v40, v40, v13
	v_pk_add_f16 v67, v56, v55 neg_lo:[0,1] neg_hi:[0,1]
	v_pk_add_f16 v73, v70, v88 neg_lo:[0,1] neg_hi:[0,1]
	v_add_f16_e32 v40, v40, v12
	v_pk_add_f16 v67, v67, v73
	v_sub_f16_sdwa v73, v56, v55 dst_sel:DWORD dst_unused:UNUSED_PAD src0_sel:WORD_1 src1_sel:WORD_1
	v_sub_f16_sdwa v74, v70, v88 dst_sel:DWORD dst_unused:UNUSED_PAD src0_sel:WORD_1 src1_sel:WORD_1
	v_add_f16_e32 v40, v40, v5
	v_add_f16_e32 v73, v73, v74
	;; [unrolled: 1-line block ×3, first 2 shown]
	v_fma_f16 v40, v68, s0, v65
	v_fma_f16 v40, v69, s6, v40
	;; [unrolled: 1-line block ×3, first 2 shown]
	v_add_f16_e32 v40, v43, v56
	v_add_f16_e32 v40, v40, v55
	;; [unrolled: 1-line block ×5, first 2 shown]
	v_fma_f16 v79, v40, -0.5, v43
	v_bfi_b32 v40, s9, v67, v61
	v_lshrrev_b32_e32 v80, 16, v63
	v_pk_mul_f16 v67, v40, s15
	v_fma_f16 v40, v80, s0, v79
	v_add_f16_sdwa v40, v67, v40 dst_sel:DWORD dst_unused:UNUSED_PAD src0_sel:WORD_1 src1_sel:DWORD
	v_add_f16_e32 v103, v67, v40
	v_lshrrev_b32_e32 v104, 16, v43
	v_add_f16_sdwa v40, v55, v88 dst_sel:DWORD dst_unused:UNUSED_PAD src0_sel:WORD_1 src1_sel:WORD_1
	v_fma_f16 v43, v40, -0.5, v104
	v_fma_f16 v40, v63, s7, v43
	v_fma_f16 v40, v61, s1, v40
	v_fma_f16 v105, v73, s8, v40
	v_mul_f16_e32 v40, 0x38b4, v105
	v_fma_f16 v81, v103, s14, v40
	v_add_f16_e32 v40, v74, v76
	v_add_f16_e32 v82, v75, v81
	v_pack_b32_f16 v82, v40, v82
	v_mul_i32_i24_e32 v40, 10, v22
	v_lshl_add_u32 v40, v40, 1, 0
	ds_write2_b32 v40, v82, v64 offset1:1
	v_fma_f16 v64, v68, s7, v65
	v_fma_f16 v64, v69, s1, v64
	;; [unrolled: 1-line block ×4, first 2 shown]
	v_sub_f16_sdwa v64, v64, v67 dst_sel:DWORD dst_unused:UNUSED_PAD src0_sel:DWORD src1_sel:WORD_1
	v_fma_f16 v43, v63, s0, v43
	v_add_f16_e32 v106, v67, v64
	v_fma_f16 v43, v61, s6, v43
	v_sub_f16_e32 v61, v75, v81
	v_sub_f16_e32 v59, v72, v59
	v_fma_f16 v107, v73, s8, v43
	v_pack_b32_f16 v59, v61, v59
	v_mul_f16_e32 v61, 0x3a79, v106
	v_fma_f16 v61, v107, s6, -v61
	v_sub_f16_e32 v43, v74, v76
	v_add_f16_e32 v63, v62, v61
	v_pack_b32_f16 v43, v63, v43
	ds_write2_b32 v40, v43, v59 offset0:2 offset1:3
	v_sub_f16_e32 v43, v62, v61
	v_sub_f16_e32 v59, v77, v78
	;; [unrolled: 1-line block ×3, first 2 shown]
	v_add_f16_e32 v59, v59, v61
	v_sub_f16_e32 v61, v78, v77
	v_sub_f16_e32 v62, v84, v90
	v_add_f16_e32 v61, v61, v62
	v_add_f16_e32 v62, v77, v90
	v_fma_f16 v62, v62, -0.5, v41
	v_sub_f16_e32 v64, v92, v93
	v_sub_f16_e32 v63, v91, v94
	v_fma_f16 v65, v64, s7, v62
	v_fma_f16 v62, v64, s0, v62
	;; [unrolled: 1-line block ×6, first 2 shown]
	s_waitcnt vmcnt(0)
	v_pk_add_f16 v62, v71, v85 neg_lo:[0,1] neg_hi:[0,1]
	v_pk_add_f16 v67, v83, v86 neg_lo:[0,1] neg_hi:[0,1]
	v_pk_add_f16 v62, v62, v67
	v_sub_f16_sdwa v67, v71, v85 dst_sel:DWORD dst_unused:UNUSED_PAD src0_sel:WORD_1 src1_sel:WORD_1
	v_sub_f16_sdwa v68, v83, v86 dst_sel:DWORD dst_unused:UNUSED_PAD src0_sel:WORD_1 src1_sel:WORD_1
	v_add_f16_e32 v67, v67, v68
	v_pk_add_f16 v68, v85, v71 neg_lo:[0,1] neg_hi:[0,1]
	v_pk_add_f16 v69, v86, v83 neg_lo:[0,1] neg_hi:[0,1]
	v_pk_add_f16 v68, v68, v69
	v_pk_add_f16 v69, v71, v83
	v_pk_add_f16 v72, v85, v86 neg_lo:[0,1] neg_hi:[0,1]
	v_pk_fma_f16 v69, v69, 0.5, v49 op_sel_hi:[1,0,1] neg_lo:[1,0,0] neg_hi:[1,0,0]
	v_pk_mul_f16 v73, v72, s0 op_sel_hi:[1,0]
	v_pk_add_f16 v74, v73, v69 op_sel:[1,0] op_sel_hi:[0,1]
	v_pk_add_f16 v69, v69, v73 op_sel:[0,1] op_sel_hi:[1,0] neg_lo:[0,1] neg_hi:[0,1]
	v_pk_add_f16 v73, v71, v83 neg_lo:[0,1] neg_hi:[0,1]
	v_pk_mul_f16 v75, v73, s6 op_sel_hi:[1,0]
	v_pk_add_f16 v74, v74, v75 op_sel:[0,1] op_sel_hi:[1,0] neg_lo:[0,1] neg_hi:[0,1]
	v_pk_add_f16 v69, v75, v69 op_sel:[1,0] op_sel_hi:[0,1]
	v_pk_fma_f16 v108, v68, s8, v74 op_sel_hi:[1,0,1]
	v_pk_fma_f16 v109, v68, s8, v69 op_sel_hi:[1,0,1]
	v_mul_f16_e32 v68, 0x34f2, v109
	v_lshrrev_b32_e32 v69, 16, v108
	v_fma_f16 v68, v69, s0, v68
	v_mul_f16_e32 v69, 0x34f2, v108
	v_lshrrev_b32_e32 v74, 16, v109
	v_sub_f16_e32 v60, v66, v60
	v_fma_f16 v69, v74, s0, -v69
	v_pack_b32_f16 v43, v60, v43
	ds_write_b32 v40, v43 offset:16
	v_add_f16_e32 v43, v65, v68
	v_add_f16_e32 v60, v61, v69
	v_pack_b32_f16 v43, v43, v60
	v_add_f16_e32 v60, v78, v84
	v_fma_f16 v60, v60, -0.5, v41
	v_add_f16_e32 v41, v41, v77
	v_add_f16_e32 v41, v41, v78
	;; [unrolled: 1-line block ×4, first 2 shown]
	v_fma_f16 v41, v63, s0, v60
	v_fma_f16 v41, v64, s6, v41
	;; [unrolled: 1-line block ×3, first 2 shown]
	v_add_f16_e32 v41, v49, v71
	v_add_f16_e32 v41, v41, v85
	;; [unrolled: 1-line block ×5, first 2 shown]
	v_fma_f16 v76, v41, -0.5, v49
	v_bfi_b32 v41, s9, v62, v72
	v_lshrrev_b32_e32 v79, 16, v73
	v_pk_mul_f16 v62, v41, s15
	v_fma_f16 v41, v79, s0, v76
	v_add_f16_sdwa v41, v62, v41 dst_sel:DWORD dst_unused:UNUSED_PAD src0_sel:WORD_1 src1_sel:DWORD
	v_add_f16_e32 v110, v62, v41
	v_lshrrev_b32_e32 v111, 16, v49
	v_add_f16_sdwa v41, v85, v86 dst_sel:DWORD dst_unused:UNUSED_PAD src0_sel:WORD_1 src1_sel:WORD_1
	v_fma_f16 v49, v41, -0.5, v111
	v_fma_f16 v41, v73, s7, v49
	v_fma_f16 v41, v72, s1, v41
	;; [unrolled: 1-line block ×3, first 2 shown]
	v_mul_f16_e32 v41, 0x38b4, v112
	v_fma_f16 v80, v110, s14, v41
	v_add_f16_e32 v41, v66, v75
	v_add_f16_e32 v81, v74, v80
	v_pack_b32_f16 v81, v41, v81
	v_mul_i32_i24_e32 v41, 10, v28
	v_lshl_add_u32 v41, v41, 1, 0
	ds_write2_b32 v41, v81, v43 offset1:1
	v_fma_f16 v43, v63, s7, v60
	v_fma_f16 v43, v64, s1, v43
	v_fma_f16 v43, v59, s8, v43
	v_fma_f16 v59, v79, s7, v76
	v_sub_f16_sdwa v59, v59, v62 dst_sel:DWORD dst_unused:UNUSED_PAD src0_sel:DWORD src1_sel:WORD_1
	v_fma_f16 v49, v73, s0, v49
	v_add_f16_e32 v113, v62, v59
	v_fma_f16 v49, v72, s6, v49
	v_sub_f16_e32 v59, v74, v80
	v_sub_f16_e32 v60, v65, v68
	v_fma_f16 v114, v67, s8, v49
	v_pack_b32_f16 v59, v59, v60
	v_mul_f16_e32 v60, 0x3a79, v113
	v_fma_f16 v60, v114, s6, -v60
	v_sub_f16_e32 v49, v66, v75
	v_add_f16_e32 v62, v43, v60
	v_pack_b32_f16 v49, v62, v49
	ds_write2_b32 v41, v49, v59 offset0:2 offset1:3
	v_add_f16_e32 v49, v8, v26
	v_fma_f16 v4, v49, -0.5, v4
	v_sub_f16_e32 v49, v7, v8
	v_sub_f16_e32 v59, v6, v26
	;; [unrolled: 1-line block ×6, first 2 shown]
	v_add_f16_e32 v7, v7, v26
	v_add_f16_e32 v26, v46, v47
	v_fma_f16 v115, v26, -0.5, v44
	v_add_f16_e32 v26, v45, v48
	v_fma_f16 v26, v26, -0.5, v44
	v_add_f16_e32 v44, v44, v45
	v_add_f16_e32 v44, v44, v46
	;; [unrolled: 1-line block ×3, first 2 shown]
	v_sub_f16_e32 v45, v46, v45
	v_add_f16_e32 v116, v44, v48
	v_sub_f16_e32 v44, v47, v48
	v_add_f16_e32 v44, v45, v44
	v_add_f16_sdwa v45, v58, v21 dst_sel:DWORD dst_unused:UNUSED_PAD src0_sel:DWORD src1_sel:WORD_1
	v_add_f16_sdwa v45, v45, v11 dst_sel:DWORD dst_unused:UNUSED_PAD src0_sel:DWORD src1_sel:WORD_1
	;; [unrolled: 1-line block ×3, first 2 shown]
	v_pk_add_f16 v11, v11, v21 neg_lo:[0,1] neg_hi:[0,1]
	v_pk_add_f16 v21, v21, v42
	v_pk_add_f16 v10, v10, v42 neg_lo:[0,1] neg_hi:[0,1]
	v_add_f16_sdwa v117, v45, v42 dst_sel:DWORD dst_unused:UNUSED_PAD src0_sel:DWORD src1_sel:WORD_1
	v_mul_f16_e32 v42, 0xb8b4, v54
	v_fma_f16 v118, v57, s14, v42
	v_sub_f16_e32 v42, v43, v60
	v_sub_f16_e32 v43, v61, v69
	v_pk_fma_f16 v9, v21, 0.5, v9 op_sel_hi:[1,0,1] neg_lo:[1,0,0] neg_hi:[1,0,0]
	v_pk_add_f16 v10, v11, v10
	v_pk_mul_f16 v11, v53, s0 op_sel_hi:[1,0]
	v_pack_b32_f16 v42, v43, v42
	v_pk_add_f16 v21, v11, v9 op_sel:[1,0] op_sel_hi:[0,1]
	v_pk_add_f16 v9, v9, v11 op_sel:[0,1] op_sel_hi:[1,0] neg_lo:[0,1] neg_hi:[0,1]
	v_pk_mul_f16 v11, v52, s6 op_sel_hi:[1,0]
	ds_write_b32 v41, v42 offset:16
	v_fma_f16 v42, v6, s0, v26
	v_fma_f16 v26, v6, s7, v26
	v_pk_add_f16 v21, v21, v11 op_sel:[0,1] op_sel_hi:[1,0] neg_lo:[0,1] neg_hi:[0,1]
	v_pk_add_f16 v9, v11, v9 op_sel:[1,0] op_sel_hi:[0,1]
	v_fma_f16 v42, v8, s1, v42
	v_fma_f16 v26, v8, s6, v26
	v_pk_fma_f16 v11, v10, s8, v21 op_sel_hi:[1,0,1]
	v_pk_fma_f16 v9, v10, s8, v9 op_sel_hi:[1,0,1]
	v_add_f16_e32 v49, v49, v59
	v_fma_f16 v59, v51, s7, v4
	v_fma_f16 v4, v51, s0, v4
	v_pack_b32_f16 v26, v26, v42
	v_mul_f16_e32 v42, 0x34f2, v44
	v_mul_f16_e32 v10, 0x34f2, v9
	v_lshrrev_b32_e32 v21, 16, v11
	v_fma_f16 v51, v50, s6, v59
	v_fma_f16 v4, v50, s1, v4
	v_pk_add_f16 v119, v42, v26 op_sel_hi:[0,1]
	v_fma_f16 v10, v21, s0, v10
	v_mul_f16_e32 v21, 0x34f2, v11
	v_lshrrev_b32_e32 v26, 16, v9
	s_mov_b32 s16, 0x34f23b9c
	v_fma_f16 v50, v49, s8, v51
	v_fma_f16 v4, v49, s8, v4
	v_fma_f16 v21, v26, s0, -v21
	s_mov_b32 s15, 0x34f2bb9c
	v_pk_mul_f16 v9, v9, s16
	v_pk_fma_f16 v9, v11, s15, v9 op_sel:[0,0,1] op_sel_hi:[1,1,0] neg_lo:[0,0,1] neg_hi:[0,0,1]
	v_add_f16_e32 v11, v50, v10
	v_add_f16_e32 v26, v4, v21
	v_sub_f16_e32 v4, v4, v21
	v_pack_b32_f16 v11, v11, v26
	v_sub_f16_e32 v10, v50, v10
	ds_write_b32 v100, v11 offset:4
	ds_write_b16 v100, v10 offset:14
	ds_write_b16 v100, v4 offset:16
	v_fma_f16 v4, v8, s7, v115
	v_fma_f16 v4, v6, s1, v4
	;; [unrolled: 1-line block ×5, first 2 shown]
	v_mul_f16_e32 v3, 0x3a79, v3
	v_add_f16_e32 v11, v4, v118
	v_fma_f16 v6, v7, s8, v6
	v_fma_f16 v2, v2, s1, -v3
	v_bfi_b32 v4, s9, v4, v119
	v_bfi_b32 v7, s9, v118, v9
	v_sub_f16_e32 v3, v116, v117
	v_pk_add_f16 v4, v4, v7 neg_lo:[0,1] neg_hi:[0,1]
	v_add_f16_e32 v7, v6, v2
	v_add_f16_e32 v10, v116, v117
	s_movk_i32 s17, 0xffee
	v_lshl_add_u32 v43, v38, 1, 0
	v_pack_b32_f16 v3, v7, v3
	v_pack_b32_f16 v10, v10, v11
	s_load_dwordx2 s[4:5], s[4:5], 0x0
	s_waitcnt lgkmcnt(0)
	s_barrier
	v_mad_i32_i24 v42, v0, s17, v100
	v_lshl_add_u32 v46, v24, 1, 0
	v_mad_i32_i24 v26, v22, s17, v40
	v_mad_i32_i24 v21, v28, s17, v41
	v_lshl_add_u32 v44, v34, 1, 0
	v_lshl_add_u32 v45, v36, 1, 0
	ds_read_u16 v81, v43
	ds_read_u16 v80, v46
	;; [unrolled: 1-line block ×4, first 2 shown]
	ds_read_u16 v73, v42 offset:1536
	ds_read_u16 v69, v42 offset:1792
	;; [unrolled: 1-line block ×8, first 2 shown]
	ds_read_u16 v49, v21
	ds_read_u16 v50, v26
	;; [unrolled: 1-line block ×3, first 2 shown]
	ds_read_u16 v72, v42 offset:3072
	ds_read_u16 v75, v42 offset:2816
	;; [unrolled: 1-line block ×15, first 2 shown]
	s_waitcnt lgkmcnt(0)
	s_barrier
	v_pk_add_f16 v11, v119, v9
	ds_write2_b32 v100, v3, v4 offset0:2 offset1:3
	v_sub_f16_e32 v2, v6, v2
	v_sub_f16_e32 v3, v119, v9
	v_add_f16_e32 v6, v96, v99
	v_alignbit_b32 v11, v11, v11, 16
	v_pack_b32_f16 v2, v3, v2
	v_sub_f16_e32 v3, v12, v5
	v_sub_f16_e32 v4, v96, v97
	v_sub_f16_e32 v5, v99, v98
	v_fma_f16 v6, v6, -0.5, v95
	ds_write2_b32 v100, v10, v11 offset1:1
	ds_write_b32 v100, v2 offset:16
	v_sub_f16_e32 v2, v13, v87
	v_add_f16_e32 v4, v4, v5
	v_add_f16_e32 v5, v97, v98
	v_sub_f16_e32 v8, v97, v96
	v_sub_f16_e32 v9, v98, v99
	v_fma_f16 v11, v3, s0, v6
	v_fma_f16 v6, v3, s7, v6
	v_fma_f16 v5, v5, -0.5, v95
	v_add_f16_e32 v7, v95, v96
	v_add_f16_e32 v8, v8, v9
	v_add_f16_sdwa v9, v104, v56 dst_sel:DWORD dst_unused:UNUSED_PAD src0_sel:DWORD src1_sel:WORD_1
	v_fma_f16 v11, v2, s1, v11
	v_fma_f16 v6, v2, s6, v6
	v_add_f16_e32 v7, v7, v97
	v_add_f16_sdwa v9, v9, v55 dst_sel:DWORD dst_unused:UNUSED_PAD src0_sel:DWORD src1_sel:WORD_1
	v_pack_b32_f16 v6, v6, v11
	v_mul_f16_e32 v8, 0x34f2, v8
	v_fma_f16 v11, v2, s7, v5
	v_add_f16_e32 v7, v7, v98
	v_add_f16_sdwa v9, v9, v88 dst_sel:DWORD dst_unused:UNUSED_PAD src0_sel:DWORD src1_sel:WORD_1
	v_mul_f16_e32 v10, 0xb8b4, v103
	v_pk_add_f16 v6, v8, v6 op_sel_hi:[0,1]
	v_pk_mul_f16 v8, v102, s16
	v_fma_f16 v11, v3, s1, v11
	v_fma_f16 v2, v2, s0, v5
	v_add_f16_e32 v7, v7, v99
	v_add_f16_sdwa v9, v9, v70 dst_sel:DWORD dst_unused:UNUSED_PAD src0_sel:DWORD src1_sel:WORD_1
	v_fma_f16 v10, v105, s14, v10
	v_pk_fma_f16 v8, v101, s15, v8 op_sel:[0,0,1] op_sel_hi:[1,1,0] neg_lo:[0,0,1] neg_hi:[0,0,1]
	v_fma_f16 v11, v4, s8, v11
	v_fma_f16 v2, v3, s6, v2
	v_mul_f16_e32 v3, 0x3a79, v107
	v_add_f16_e32 v12, v7, v9
	v_fma_f16 v2, v4, s8, v2
	v_fma_f16 v3, v106, s1, -v3
	v_sub_f16_e32 v4, v7, v9
	v_bfi_b32 v5, s9, v11, v6
	v_bfi_b32 v7, s9, v10, v8
	v_pk_add_f16 v5, v5, v7 neg_lo:[0,1] neg_hi:[0,1]
	v_add_f16_e32 v7, v2, v3
	v_pack_b32_f16 v4, v7, v4
	ds_write2_b32 v40, v4, v5 offset0:2 offset1:3
	v_sub_f16_e32 v5, v91, v92
	v_sub_f16_e32 v7, v94, v93
	v_add_f16_e32 v5, v5, v7
	v_add_f16_e32 v7, v92, v93
	v_sub_f16_e32 v2, v2, v3
	v_sub_f16_e32 v3, v77, v90
	v_fma_f16 v7, v7, -0.5, v89
	v_add_f16_e32 v13, v11, v10
	v_sub_f16_e32 v4, v78, v84
	v_fma_f16 v9, v3, s7, v7
	v_fma_f16 v7, v3, s0, v7
	v_pack_b32_f16 v12, v12, v13
	v_pk_add_f16 v13, v6, v8
	v_fma_f16 v9, v4, s1, v9
	v_fma_f16 v7, v4, s6, v7
	v_alignbit_b32 v13, v13, v13, 16
	v_fma_f16 v9, v5, s8, v9
	v_fma_f16 v5, v5, s8, v7
	v_add_f16_e32 v7, v91, v94
	ds_write2_b32 v40, v12, v13 offset1:1
	v_fma_f16 v7, v7, -0.5, v89
	v_sub_f16_e32 v11, v92, v91
	v_sub_f16_e32 v12, v93, v94
	v_add_f16_e32 v11, v11, v12
	v_fma_f16 v12, v4, s0, v7
	v_fma_f16 v4, v4, s7, v7
	v_add_f16_e32 v10, v89, v91
	v_fma_f16 v7, v3, s1, v12
	v_fma_f16 v3, v3, s6, v4
	v_add_f16_sdwa v4, v111, v71 dst_sel:DWORD dst_unused:UNUSED_PAD src0_sel:DWORD src1_sel:WORD_1
	v_add_f16_e32 v10, v10, v92
	v_add_f16_sdwa v4, v4, v85 dst_sel:DWORD dst_unused:UNUSED_PAD src0_sel:DWORD src1_sel:WORD_1
	v_pack_b32_f16 v3, v3, v7
	v_mul_f16_e32 v7, 0x34f2, v11
	v_add_f16_e32 v10, v10, v93
	v_add_f16_sdwa v4, v4, v86 dst_sel:DWORD dst_unused:UNUSED_PAD src0_sel:DWORD src1_sel:WORD_1
	v_mul_f16_e32 v13, 0x3a79, v114
	v_pk_add_f16 v3, v7, v3 op_sel_hi:[0,1]
	v_pk_mul_f16 v7, v109, s16
	v_sub_f16_e32 v6, v6, v8
	v_add_f16_e32 v10, v10, v94
	v_add_f16_sdwa v4, v4, v83 dst_sel:DWORD dst_unused:UNUSED_PAD src0_sel:DWORD src1_sel:WORD_1
	v_fma_f16 v13, v113, s1, -v13
	v_pk_fma_f16 v7, v108, s15, v7 op_sel:[0,0,1] op_sel_hi:[1,1,0] neg_lo:[0,0,1] neg_hi:[0,0,1]
	v_pack_b32_f16 v2, v6, v2
	v_mul_f16_e32 v12, 0xb8b4, v110
	v_add_f16_e32 v55, v10, v4
	v_sub_f16_e32 v4, v10, v4
	v_add_f16_e32 v10, v5, v13
	v_sub_f16_e32 v5, v5, v13
	ds_write_b32 v40, v2 offset:16
	v_sub_f16_e32 v2, v3, v7
	v_fma_f16 v12, v112, s14, v12
	v_pack_b32_f16 v2, v2, v5
	s_movk_i32 s0, 0xcd
	v_add_f16_e32 v8, v9, v12
	v_pk_add_f16 v6, v3, v7
	ds_write_b32 v41, v2 offset:16
	v_mul_lo_u16_sdwa v2, v0, s0 dst_sel:DWORD dst_unused:UNUSED_PAD src0_sel:BYTE_0 src1_sel:DWORD
	v_alignbit_b32 v6, v6, v6, 16
	v_pack_b32_f16 v8, v55, v8
	v_lshrrev_b16_e32 v55, 11, v2
	ds_write2_b32 v41, v8, v6 offset1:1
	v_bfi_b32 v3, s9, v9, v3
	v_bfi_b32 v6, s9, v12, v7
	v_mul_lo_u16_e32 v2, 10, v55
	v_pk_add_f16 v3, v3, v6 neg_lo:[0,1] neg_hi:[0,1]
	v_sub_u16_e32 v56, v0, v2
	v_mov_b32_e32 v6, 5
	v_mul_u32_u24_sdwa v2, v56, v6 dst_sel:DWORD dst_unused:UNUSED_PAD src0_sel:BYTE_0 src1_sel:DWORD
	v_pack_b32_f16 v4, v10, v4
	v_lshlrev_b32_e32 v86, 2, v2
	ds_write2_b32 v41, v4, v3 offset0:2 offset1:3
	s_waitcnt lgkmcnt(0)
	s_barrier
	global_load_dwordx4 v[2:5], v86, s[12:13]
	v_mul_lo_u16_sdwa v7, v22, s0 dst_sel:DWORD dst_unused:UNUSED_PAD src0_sel:BYTE_0 src1_sel:DWORD
	v_lshrrev_b16_e32 v70, 11, v7
	v_mul_lo_u16_e32 v7, 10, v70
	v_sub_u16_e32 v71, v22, v7
	v_mul_u32_u24_sdwa v6, v71, v6 dst_sel:DWORD dst_unused:UNUSED_PAD src0_sel:BYTE_0 src1_sel:DWORD
	v_lshlrev_b32_e32 v84, 2, v6
	global_load_dwordx4 v[6:9], v84, s[12:13]
	s_mov_b32 s0, 0xcccd
	v_mul_u32_u24_sdwa v10, v28, s0 dst_sel:DWORD dst_unused:UNUSED_PAD src0_sel:WORD_0 src1_sel:DWORD
	v_lshrrev_b32_e32 v77, 19, v10
	v_mul_lo_u16_e32 v10, 10, v77
	v_sub_u16_e32 v78, v28, v10
	v_mul_u32_u24_e32 v10, 5, v78
	v_lshlrev_b32_e32 v85, 2, v10
	global_load_dwordx4 v[10:13], v85, s[12:13]
	global_load_dword v83, v86, s[12:13] offset:16
	ds_read_u16 v87, v43
	ds_read_u16 v86, v46
	;; [unrolled: 1-line block ×6, first 2 shown]
	s_movk_i32 s1, 0x3aee
	v_mul_u32_u24_e32 v55, 0x78, v55
	s_mov_b32 s6, 0x8889
	s_waitcnt vmcnt(3) lgkmcnt(5)
	v_mul_f16_sdwa v88, v87, v2 dst_sel:DWORD dst_unused:UNUSED_PAD src0_sel:DWORD src1_sel:WORD_1
	v_fma_f16 v100, v81, v2, -v88
	v_mul_u32_u24_sdwa v88, v34, s0 dst_sel:DWORD dst_unused:UNUSED_PAD src0_sel:WORD_0 src1_sel:DWORD
	v_lshrrev_b32_e32 v101, 19, v88
	v_mul_lo_u16_e32 v88, 10, v101
	v_sub_u16_e32 v102, v34, v88
	v_mul_u32_u24_e32 v88, 5, v102
	v_mul_f16_sdwa v81, v81, v2 dst_sel:DWORD dst_unused:UNUSED_PAD src0_sel:DWORD src1_sel:WORD_1
	v_lshlrev_b32_e32 v103, 2, v88
	v_fma_f16 v2, v87, v2, v81
	s_waitcnt lgkmcnt(4)
	v_mul_f16_sdwa v81, v86, v3 dst_sel:DWORD dst_unused:UNUSED_PAD src0_sel:DWORD src1_sel:WORD_1
	global_load_dwordx4 v[88:91], v103, s[12:13]
	v_fma_f16 v81, v80, v3, -v81
	v_mul_f16_sdwa v80, v80, v3 dst_sel:DWORD dst_unused:UNUSED_PAD src0_sel:DWORD src1_sel:WORD_1
	v_fma_f16 v3, v86, v3, v80
	v_mul_u32_u24_sdwa v80, v36, s0 dst_sel:DWORD dst_unused:UNUSED_PAD src0_sel:WORD_0 src1_sel:DWORD
	v_lshrrev_b32_e32 v80, 19, v80
	v_mul_lo_u16_e32 v86, 10, v80
	v_sub_u16_e32 v86, v36, v86
	v_mul_u32_u24_e32 v87, 5, v86
	v_lshlrev_b32_e32 v87, 2, v87
	global_load_dwordx4 v[92:95], v87, s[12:13]
	ds_read_u16 v104, v42 offset:3840
	ds_read_u16 v105, v42 offset:4096
	;; [unrolled: 1-line block ×8, first 2 shown]
	s_waitcnt lgkmcnt(7)
	v_mul_f16_sdwa v112, v104, v4 dst_sel:DWORD dst_unused:UNUSED_PAD src0_sel:DWORD src1_sel:WORD_1
	v_fma_f16 v112, v82, v4, -v112
	v_mul_f16_sdwa v82, v82, v4 dst_sel:DWORD dst_unused:UNUSED_PAD src0_sel:DWORD src1_sel:WORD_1
	v_fma_f16 v4, v104, v4, v82
	s_waitcnt lgkmcnt(1)
	v_mul_f16_sdwa v82, v110, v5 dst_sel:DWORD dst_unused:UNUSED_PAD src0_sel:DWORD src1_sel:WORD_1
	v_fma_f16 v82, v79, v5, -v82
	v_mul_f16_sdwa v79, v79, v5 dst_sel:DWORD dst_unused:UNUSED_PAD src0_sel:DWORD src1_sel:WORD_1
	v_fma_f16 v5, v110, v5, v79
	ds_read_u16 v79, v42 offset:1536
	ds_read_u16 v104, v42 offset:1792
	;; [unrolled: 1-line block ×4, first 2 shown]
	global_load_dword v84, v84, s[12:13] offset:16
	ds_read_u16 v114, v42 offset:3072
	ds_read_u16 v115, v42 offset:2816
	;; [unrolled: 1-line block ×3, first 2 shown]
	ds_read_u16 v117, v42
	s_waitcnt vmcnt(5) lgkmcnt(7)
	v_mul_f16_sdwa v118, v79, v6 dst_sel:DWORD dst_unused:UNUSED_PAD src0_sel:DWORD src1_sel:WORD_1
	v_fma_f16 v118, v73, v6, -v118
	v_mul_f16_sdwa v73, v73, v6 dst_sel:DWORD dst_unused:UNUSED_PAD src0_sel:DWORD src1_sel:WORD_1
	global_load_dword v85, v85, s[12:13] offset:16
	v_fma_f16 v79, v79, v6, v73
	s_waitcnt lgkmcnt(2)
	v_mul_f16_sdwa v6, v115, v7 dst_sel:DWORD dst_unused:UNUSED_PAD src0_sel:DWORD src1_sel:WORD_1
	v_fma_f16 v119, v75, v7, -v6
	global_load_dword v6, v103, s[12:13] offset:16
	v_mul_f16_sdwa v73, v75, v7 dst_sel:DWORD dst_unused:UNUSED_PAD src0_sel:DWORD src1_sel:WORD_1
	v_fma_f16 v75, v115, v7, v73
	global_load_dword v73, v87, s[12:13] offset:16
	v_mul_f16_sdwa v7, v105, v8 dst_sel:DWORD dst_unused:UNUSED_PAD src0_sel:DWORD src1_sel:WORD_1
	v_fma_f16 v7, v76, v8, -v7
	v_mul_f16_sdwa v76, v76, v8 dst_sel:DWORD dst_unused:UNUSED_PAD src0_sel:DWORD src1_sel:WORD_1
	v_fma_f16 v8, v105, v8, v76
	v_mul_f16_sdwa v76, v109, v9 dst_sel:DWORD dst_unused:UNUSED_PAD src0_sel:DWORD src1_sel:WORD_1
	v_fma_f16 v76, v74, v9, -v76
	v_mul_f16_sdwa v74, v74, v9 dst_sel:DWORD dst_unused:UNUSED_PAD src0_sel:DWORD src1_sel:WORD_1
	v_fma_f16 v9, v109, v9, v74
	s_waitcnt vmcnt(7)
	v_mul_f16_sdwa v74, v104, v10 dst_sel:DWORD dst_unused:UNUSED_PAD src0_sel:DWORD src1_sel:WORD_1
	v_fma_f16 v74, v69, v10, -v74
	v_mul_f16_sdwa v69, v69, v10 dst_sel:DWORD dst_unused:UNUSED_PAD src0_sel:DWORD src1_sel:WORD_1
	v_fma_f16 v10, v104, v10, v69
	v_mul_f16_sdwa v69, v114, v11 dst_sel:DWORD dst_unused:UNUSED_PAD src0_sel:DWORD src1_sel:WORD_1
	v_fma_f16 v69, v72, v11, -v69
	v_mul_f16_sdwa v72, v72, v11 dst_sel:DWORD dst_unused:UNUSED_PAD src0_sel:DWORD src1_sel:WORD_1
	v_fma_f16 v11, v114, v11, v72
	;; [unrolled: 4-line block ×3, first 2 shown]
	ds_read_u16 v68, v42 offset:6912
	ds_read_u16 v87, v42 offset:7168
	;; [unrolled: 1-line block ×8, first 2 shown]
	s_waitcnt lgkmcnt(4)
	v_mul_f16_sdwa v115, v104, v13 dst_sel:DWORD dst_unused:UNUSED_PAD src0_sel:DWORD src1_sel:WORD_1
	v_fma_f16 v115, v67, v13, -v115
	v_mul_f16_sdwa v67, v67, v13 dst_sel:DWORD dst_unused:UNUSED_PAD src0_sel:DWORD src1_sel:WORD_1
	v_fma_f16 v13, v104, v13, v67
	s_mov_b32 s0, 0xbaee
	s_waitcnt vmcnt(0) lgkmcnt(0)
	s_barrier
	v_mul_f16_sdwa v67, v110, v88 dst_sel:DWORD dst_unused:UNUSED_PAD src0_sel:DWORD src1_sel:WORD_1
	v_fma_f16 v67, v66, v88, -v67
	v_mul_f16_sdwa v66, v66, v88 dst_sel:DWORD dst_unused:UNUSED_PAD src0_sel:DWORD src1_sel:WORD_1
	v_fma_f16 v66, v110, v88, v66
	v_mul_f16_sdwa v88, v113, v89 dst_sel:DWORD dst_unused:UNUSED_PAD src0_sel:DWORD src1_sel:WORD_1
	v_fma_f16 v88, v63, v89, -v88
	v_mul_f16_sdwa v63, v63, v89 dst_sel:DWORD dst_unused:UNUSED_PAD src0_sel:DWORD src1_sel:WORD_1
	v_fma_f16 v89, v113, v89, v63
	;; [unrolled: 4-line block ×3, first 2 shown]
	v_mul_f16_sdwa v61, v105, v91 dst_sel:DWORD dst_unused:UNUSED_PAD src0_sel:DWORD src1_sel:WORD_1
	v_fma_f16 v104, v60, v91, -v61
	v_mul_f16_sdwa v61, v116, v92 dst_sel:DWORD dst_unused:UNUSED_PAD src0_sel:DWORD src1_sel:WORD_1
	v_mul_f16_sdwa v60, v60, v91 dst_sel:DWORD dst_unused:UNUSED_PAD src0_sel:DWORD src1_sel:WORD_1
	v_fma_f16 v61, v62, v92, -v61
	v_mul_f16_sdwa v62, v62, v92 dst_sel:DWORD dst_unused:UNUSED_PAD src0_sel:DWORD src1_sel:WORD_1
	v_fma_f16 v60, v105, v91, v60
	v_fma_f16 v91, v116, v92, v62
	v_mul_f16_sdwa v62, v111, v93 dst_sel:DWORD dst_unused:UNUSED_PAD src0_sel:DWORD src1_sel:WORD_1
	v_fma_f16 v92, v65, v93, -v62
	v_mul_f16_sdwa v62, v65, v93 dst_sel:DWORD dst_unused:UNUSED_PAD src0_sel:DWORD src1_sel:WORD_1
	v_fma_f16 v93, v111, v93, v62
	v_mul_f16_sdwa v62, v108, v94 dst_sel:DWORD dst_unused:UNUSED_PAD src0_sel:DWORD src1_sel:WORD_1
	v_fma_f16 v62, v58, v94, -v62
	v_mul_f16_sdwa v58, v58, v94 dst_sel:DWORD dst_unused:UNUSED_PAD src0_sel:DWORD src1_sel:WORD_1
	v_mul_f16_sdwa v65, v106, v95 dst_sel:DWORD dst_unused:UNUSED_PAD src0_sel:DWORD src1_sel:WORD_1
	v_fma_f16 v58, v108, v94, v58
	v_fma_f16 v94, v64, v95, -v65
	v_mul_f16_sdwa v64, v64, v95 dst_sel:DWORD dst_unused:UNUSED_PAD src0_sel:DWORD src1_sel:WORD_1
	v_fma_f16 v95, v106, v95, v64
	v_mul_f16_sdwa v64, v114, v83 dst_sel:DWORD dst_unused:UNUSED_PAD src0_sel:DWORD src1_sel:WORD_1
	v_fma_f16 v64, v59, v83, -v64
	v_mul_f16_sdwa v59, v59, v83 dst_sel:DWORD dst_unused:UNUSED_PAD src0_sel:DWORD src1_sel:WORD_1
	v_fma_f16 v59, v114, v83, v59
	v_mul_f16_sdwa v65, v109, v84 dst_sel:DWORD dst_unused:UNUSED_PAD src0_sel:DWORD src1_sel:WORD_1
	v_mul_f16_sdwa v83, v68, v85 dst_sel:DWORD dst_unused:UNUSED_PAD src0_sel:DWORD src1_sel:WORD_1
	v_fma_f16 v65, v57, v84, -v65
	v_mul_f16_sdwa v57, v57, v84 dst_sel:DWORD dst_unused:UNUSED_PAD src0_sel:DWORD src1_sel:WORD_1
	v_fma_f16 v83, v54, v85, -v83
	v_mul_f16_sdwa v54, v54, v85 dst_sel:DWORD dst_unused:UNUSED_PAD src0_sel:DWORD src1_sel:WORD_1
	v_fma_f16 v57, v109, v84, v57
	v_fma_f16 v84, v68, v85, v54
	v_mul_f16_sdwa v54, v87, v6 dst_sel:DWORD dst_unused:UNUSED_PAD src0_sel:DWORD src1_sel:WORD_1
	v_fma_f16 v54, v53, v6, -v54
	v_mul_f16_sdwa v53, v53, v6 dst_sel:DWORD dst_unused:UNUSED_PAD src0_sel:DWORD src1_sel:WORD_1
	v_fma_f16 v85, v87, v6, v53
	v_mul_f16_sdwa v6, v103, v73 dst_sel:DWORD dst_unused:UNUSED_PAD src0_sel:DWORD src1_sel:WORD_1
	v_fma_f16 v6, v52, v73, -v6
	v_mul_f16_sdwa v52, v52, v73 dst_sel:DWORD dst_unused:UNUSED_PAD src0_sel:DWORD src1_sel:WORD_1
	v_fma_f16 v87, v103, v73, v52
	v_add_f16_e32 v52, v81, v82
	v_fma_f16 v52, v52, -0.5, v51
	v_sub_f16_e32 v53, v3, v5
	v_fma_f16 v68, v53, s1, v52
	v_fma_f16 v52, v53, s0, v52
	v_add_f16_e32 v53, v117, v3
	v_add_f16_e32 v3, v3, v5
	;; [unrolled: 1-line block ×3, first 2 shown]
	v_fma_f16 v3, v3, -0.5, v117
	v_add_f16_e32 v5, v51, v81
	v_sub_f16_e32 v51, v81, v82
	v_fma_f16 v73, v51, s0, v3
	v_fma_f16 v3, v51, s1, v3
	v_add_f16_e32 v51, v112, v64
	v_fma_f16 v51, v51, -0.5, v100
	v_sub_f16_e32 v81, v4, v59
	v_add_f16_e32 v5, v5, v82
	v_fma_f16 v82, v81, s1, v51
	v_fma_f16 v51, v81, s0, v51
	v_add_f16_e32 v81, v2, v4
	v_add_f16_e32 v4, v4, v59
	;; [unrolled: 1-line block ×3, first 2 shown]
	v_fma_f16 v2, v4, -0.5, v2
	v_add_f16_e32 v4, v100, v112
	v_sub_f16_e32 v59, v112, v64
	v_add_f16_e32 v4, v4, v64
	v_fma_f16 v64, v59, s0, v2
	v_fma_f16 v2, v59, s1, v2
	v_mul_f16_e32 v59, 0x3aee, v64
	v_fma_f16 v59, v82, 0.5, v59
	v_mul_f16_e32 v82, 0xbaee, v82
	v_fma_f16 v64, v64, 0.5, v82
	v_mul_f16_e32 v82, -0.5, v51
	v_fma_f16 v82, v2, s1, v82
	v_mul_f16_e32 v2, -0.5, v2
	v_fma_f16 v2, v51, s0, v2
	v_add_f16_e32 v106, v3, v2
	v_sub_f16_e32 v2, v3, v2
	v_add_f16_e32 v3, v119, v76
	v_add_f16_e32 v51, v5, v4
	v_sub_f16_e32 v5, v5, v4
	v_fma_f16 v3, v3, -0.5, v50
	v_sub_f16_e32 v4, v75, v9
	v_add_f16_e32 v100, v68, v59
	v_sub_f16_e32 v59, v68, v59
	v_add_f16_e32 v68, v52, v82
	;; [unrolled: 2-line block ×3, first 2 shown]
	v_sub_f16_e32 v81, v53, v81
	v_fma_f16 v53, v4, s1, v3
	v_fma_f16 v3, v4, s0, v3
	v_add_f16_e32 v4, v7, v65
	v_add_f16_e32 v103, v73, v64
	v_sub_f16_e32 v105, v73, v64
	v_fma_f16 v4, v4, -0.5, v118
	v_sub_f16_e32 v64, v8, v57
	v_fma_f16 v107, v64, s1, v4
	v_fma_f16 v108, v64, s0, v4
	v_add_f16_e32 v64, v8, v57
	v_add_f16_e32 v4, v118, v7
	v_sub_f16_e32 v7, v7, v65
	v_fma_f16 v64, v64, -0.5, v79
	v_fma_f16 v109, v7, s0, v64
	v_fma_f16 v110, v7, s1, v64
	v_add_f16_e32 v7, v50, v119
	v_add_f16_e32 v4, v4, v65
	;; [unrolled: 1-line block ×4, first 2 shown]
	v_sub_f16_e32 v7, v7, v4
	v_mul_f16_e32 v4, 0x3aee, v109
	v_fma_f16 v4, v107, 0.5, v4
	v_add_f16_e32 v64, v53, v4
	v_sub_f16_e32 v53, v53, v4
	v_mul_f16_e32 v4, -0.5, v108
	v_fma_f16 v4, v110, s1, v4
	v_add_f16_e32 v65, v3, v4
	v_sub_f16_e32 v3, v3, v4
	v_add_f16_e32 v4, v69, v115
	v_fma_f16 v4, v4, -0.5, v49
	v_sub_f16_e32 v73, v11, v13
	v_fma_f16 v111, v73, s1, v4
	v_fma_f16 v4, v73, s0, v4
	v_add_f16_e32 v73, v72, v83
	v_fma_f16 v73, v73, -0.5, v74
	v_sub_f16_e32 v112, v12, v84
	v_fma_f16 v113, v112, s1, v73
	v_fma_f16 v112, v112, s0, v73
	v_add_f16_e32 v73, v74, v72
	v_add_f16_e32 v74, v12, v84
	v_sub_f16_e32 v72, v72, v83
	v_fma_f16 v74, v74, -0.5, v10
	v_add_f16_e32 v49, v49, v69
	v_add_f16_e32 v73, v73, v83
	v_fma_f16 v83, v72, s0, v74
	v_add_f16_e32 v49, v49, v115
	v_fma_f16 v74, v72, s1, v74
	v_add_f16_e32 v72, v49, v73
	v_sub_f16_e32 v49, v49, v73
	v_mul_f16_e32 v73, 0x3aee, v83
	v_fma_f16 v73, v113, 0.5, v73
	v_add_f16_e32 v114, v111, v73
	v_sub_f16_e32 v73, v111, v73
	v_mul_f16_e32 v111, -0.5, v112
	v_fma_f16 v111, v74, s1, v111
	v_add_f16_e32 v116, v4, v111
	v_sub_f16_e32 v111, v4, v111
	v_add_f16_e32 v4, v88, v104
	v_fma_f16 v4, v4, -0.5, v48
	v_sub_f16_e32 v117, v89, v60
	v_fma_f16 v118, v117, s1, v4
	v_fma_f16 v4, v117, s0, v4
	v_add_f16_e32 v117, v63, v54
	v_fma_f16 v117, v117, -0.5, v67
	v_add_f16_e32 v67, v67, v63
	v_add_f16_e32 v67, v67, v54
	v_sub_f16_e32 v54, v63, v54
	v_add_f16_e32 v63, v90, v85
	v_sub_f16_e32 v120, v90, v85
	v_fma_f16 v63, v63, -0.5, v66
	v_fma_f16 v121, v120, s1, v117
	v_fma_f16 v117, v120, s0, v117
	;; [unrolled: 1-line block ×4, first 2 shown]
	v_add_f16_e32 v48, v48, v88
	v_mul_f16_e32 v63, 0x3aee, v120
	v_add_f16_e32 v48, v48, v104
	v_fma_f16 v63, v121, 0.5, v63
	v_add_f16_e32 v54, v48, v67
	v_sub_f16_e32 v48, v48, v67
	v_add_f16_e32 v67, v118, v63
	v_sub_f16_e32 v63, v118, v63
	v_mul_f16_e32 v118, -0.5, v117
	v_fma_f16 v118, v122, s1, v118
	v_add_f16_e32 v123, v4, v118
	v_sub_f16_e32 v118, v4, v118
	v_add_f16_e32 v4, v92, v94
	v_fma_f16 v4, v4, -0.5, v47
	v_sub_f16_e32 v124, v93, v95
	v_fma_f16 v125, v124, s1, v4
	v_fma_f16 v4, v124, s0, v4
	v_add_f16_e32 v124, v62, v6
	v_fma_f16 v124, v124, -0.5, v61
	v_add_f16_e32 v61, v61, v62
	v_add_f16_e32 v61, v61, v6
	v_sub_f16_e32 v6, v62, v6
	v_add_f16_e32 v62, v58, v87
	v_sub_f16_e32 v126, v58, v87
	v_fma_f16 v62, v62, -0.5, v91
	v_fma_f16 v127, v126, s1, v124
	v_fma_f16 v124, v126, s0, v124
	;; [unrolled: 1-line block ×4, first 2 shown]
	v_add_f16_e32 v6, v47, v92
	v_add_f16_e32 v6, v6, v94
	;; [unrolled: 1-line block ×3, first 2 shown]
	v_sub_f16_e32 v6, v6, v61
	v_mul_f16_e32 v61, 0x3aee, v126
	v_fma_f16 v61, v127, 0.5, v61
	v_add_f16_e32 v62, v125, v61
	v_sub_f16_e32 v61, v125, v61
	v_mul_f16_e32 v125, -0.5, v124
	v_fma_f16 v125, v128, s1, v125
	v_add_f16_e32 v129, v4, v125
	v_sub_f16_e32 v125, v4, v125
	v_mov_b32_e32 v4, 1
	v_lshlrev_b32_sdwa v56, v4, v56 dst_sel:DWORD dst_unused:UNUSED_PAD src0_sel:DWORD src1_sel:BYTE_0
	v_add3_u32 v55, 0, v55, v56
	ds_write_b16 v55, v51
	ds_write_b16 v55, v100 offset:20
	ds_write_b16 v55, v68 offset:40
	;; [unrolled: 1-line block ×5, first 2 shown]
	v_mul_u32_u24_e32 v5, 0x78, v70
	v_lshlrev_b32_sdwa v51, v4, v71 dst_sel:DWORD dst_unused:UNUSED_PAD src0_sel:DWORD src1_sel:BYTE_0
	v_add3_u32 v5, 0, v5, v51
	ds_write_b16 v5, v50
	ds_write_b16 v5, v64 offset:20
	ds_write_b16 v5, v65 offset:40
	ds_write_b16 v5, v7 offset:60
	ds_write_b16 v5, v53 offset:80
	ds_write_b16 v5, v3 offset:100
	v_mul_u32_u24_e32 v3, 0x78, v77
	v_lshlrev_b32_e32 v7, 1, v78
	v_add3_u32 v3, 0, v3, v7
	ds_write_b16 v3, v72
	ds_write_b16 v3, v114 offset:20
	ds_write_b16 v3, v116 offset:40
	ds_write_b16 v3, v49 offset:60
	ds_write_b16 v3, v73 offset:80
	ds_write_b16 v3, v111 offset:100
	v_mul_u32_u24_e32 v7, 0x78, v101
	v_lshlrev_b32_e32 v49, 1, v102
	;; [unrolled: 9-line block ×3, first 2 shown]
	v_add3_u32 v59, 0, v7, v48
	ds_write_b16 v59, v47
	ds_write_b16 v59, v62 offset:20
	ds_write_b16 v59, v129 offset:40
	;; [unrolled: 1-line block ×5, first 2 shown]
	v_lshl_add_u32 v47, v32, 1, 0
	v_lshl_add_u32 v51, v30, 1, 0
	s_waitcnt lgkmcnt(0)
	s_barrier
	ds_read_u16 v67, v43
	ds_read_u16 v77, v42
	ds_read_u16 v78, v42 offset:3840
	ds_read_u16 v80, v42 offset:4096
	;; [unrolled: 1-line block ×7, first 2 shown]
	v_lshl_add_u32 v48, v18, 1, 0
	v_lshl_add_u32 v49, v27, 1, 0
	;; [unrolled: 1-line block ×3, first 2 shown]
	ds_read_u16 v71, v47
	ds_read_u16 v68, v48
	;; [unrolled: 1-line block ×7, first 2 shown]
	v_lshl_add_u32 v52, v20, 1, 0
	v_lshl_add_u32 v53, v25, 1, 0
	ds_read_u16 v62, v51
	ds_read_u16 v61, v52
	;; [unrolled: 1-line block ×3, first 2 shown]
	v_lshl_add_u32 v54, v31, 1, 0
	ds_read_u16 v114, v21
	ds_read_u16 v116, v26
	;; [unrolled: 1-line block ×3, first 2 shown]
	ds_read_u16 v118, v42 offset:5632
	ds_read_u16 v123, v42 offset:5888
	;; [unrolled: 1-line block ×8, first 2 shown]
	s_waitcnt lgkmcnt(0)
	s_barrier
	ds_write_b16 v55, v82
	ds_write_b16 v55, v103 offset:20
	ds_write_b16 v55, v106 offset:40
	;; [unrolled: 1-line block ×5, first 2 shown]
	v_add_f16_e32 v2, v99, v75
	v_add_f16_e32 v2, v2, v9
	;; [unrolled: 1-line block ×3, first 2 shown]
	v_fma_f16 v9, v9, -0.5, v99
	v_sub_f16_e32 v55, v119, v76
	v_add_f16_e32 v8, v79, v8
	v_fma_f16 v70, v55, s0, v9
	v_fma_f16 v9, v55, s1, v9
	v_add_f16_e32 v8, v8, v57
	v_mul_f16_e32 v55, 0xbaee, v107
	v_mul_f16_e32 v57, -0.5, v110
	v_fma_f16 v55, v109, 0.5, v55
	v_fma_f16 v57, v108, s0, v57
	v_add_f16_e32 v75, v2, v8
	v_sub_f16_e32 v2, v2, v8
	v_add_f16_e32 v8, v70, v55
	v_sub_f16_e32 v55, v70, v55
	;; [unrolled: 2-line block ×3, first 2 shown]
	ds_write_b16 v5, v75
	ds_write_b16 v5, v8 offset:20
	ds_write_b16 v5, v70 offset:40
	;; [unrolled: 1-line block ×5, first 2 shown]
	v_add_f16_e32 v5, v11, v13
	v_fma_f16 v5, v5, -0.5, v98
	v_sub_f16_e32 v8, v69, v115
	v_add_f16_e32 v2, v98, v11
	v_fma_f16 v9, v8, s0, v5
	v_fma_f16 v5, v8, s1, v5
	v_add_f16_e32 v8, v10, v12
	v_add_f16_e32 v2, v2, v13
	;; [unrolled: 1-line block ×3, first 2 shown]
	v_mul_f16_e32 v10, 0xbaee, v113
	v_mul_f16_e32 v11, -0.5, v74
	v_fma_f16 v10, v83, 0.5, v10
	v_fma_f16 v11, v112, s0, v11
	v_add_f16_e32 v12, v2, v8
	v_sub_f16_e32 v2, v2, v8
	v_add_f16_e32 v8, v9, v10
	v_sub_f16_e32 v9, v9, v10
	;; [unrolled: 2-line block ×3, first 2 shown]
	ds_write_b16 v3, v12
	ds_write_b16 v3, v8 offset:20
	ds_write_b16 v3, v10 offset:40
	;; [unrolled: 1-line block ×5, first 2 shown]
	v_add_f16_e32 v3, v89, v60
	v_fma_f16 v3, v3, -0.5, v96
	v_sub_f16_e32 v5, v88, v104
	v_add_f16_e32 v2, v96, v89
	v_fma_f16 v8, v5, s0, v3
	v_fma_f16 v3, v5, s1, v3
	v_add_f16_e32 v5, v66, v90
	v_mul_f16_e32 v9, 0xbaee, v121
	v_mul_f16_e32 v10, -0.5, v122
	v_add_f16_e32 v2, v2, v60
	v_add_f16_e32 v5, v5, v85
	v_fma_f16 v9, v120, 0.5, v9
	v_fma_f16 v10, v117, s0, v10
	v_add_f16_e32 v11, v2, v5
	v_sub_f16_e32 v2, v2, v5
	v_add_f16_e32 v5, v8, v9
	v_sub_f16_e32 v8, v8, v9
	;; [unrolled: 2-line block ×3, first 2 shown]
	ds_write_b16 v56, v11
	ds_write_b16 v56, v5 offset:20
	ds_write_b16 v56, v9 offset:40
	ds_write_b16 v56, v2 offset:60
	ds_write_b16 v56, v8 offset:80
	ds_write_b16 v56, v3 offset:100
	v_add_f16_e32 v3, v93, v95
	v_fma_f16 v3, v3, -0.5, v97
	v_sub_f16_e32 v5, v92, v94
	v_add_f16_e32 v2, v97, v93
	v_fma_f16 v8, v5, s0, v3
	v_fma_f16 v3, v5, s1, v3
	v_add_f16_e32 v5, v91, v58
	v_mul_f16_e32 v9, 0xbaee, v127
	v_add_f16_e32 v2, v2, v95
	v_add_f16_e32 v5, v5, v87
	v_fma_f16 v9, v126, 0.5, v9
	v_mul_f16_e32 v10, -0.5, v128
	v_mul_u32_u24_sdwa v69, v28, s6 dst_sel:DWORD dst_unused:UNUSED_PAD src0_sel:WORD_0 src1_sel:DWORD
	v_fma_f16 v10, v124, s0, v10
	v_add_f16_e32 v11, v2, v5
	v_sub_f16_e32 v2, v2, v5
	v_add_f16_e32 v5, v8, v9
	s_movk_i32 s0, 0x89
	v_lshrrev_b32_e32 v83, 21, v69
	v_sub_f16_e32 v8, v8, v9
	v_add_f16_e32 v9, v3, v10
	v_sub_f16_e32 v3, v3, v10
	ds_write_b16 v59, v11
	ds_write_b16 v59, v5 offset:20
	ds_write_b16 v59, v9 offset:40
	;; [unrolled: 1-line block ×5, first 2 shown]
	v_mul_lo_u16_sdwa v2, v0, s0 dst_sel:DWORD dst_unused:UNUSED_PAD src0_sel:BYTE_0 src1_sel:DWORD
	v_mul_lo_u16_e32 v5, 60, v83
	v_lshrrev_b16_e32 v76, 13, v2
	v_sub_u16_e32 v84, v28, v5
	v_mul_u32_u24_sdwa v5, v34, s6 dst_sel:DWORD dst_unused:UNUSED_PAD src0_sel:WORD_0 src1_sel:DWORD
	v_mul_lo_u16_e32 v2, 60, v76
	v_mul_lo_u16_sdwa v70, v22, s0 dst_sel:DWORD dst_unused:UNUSED_PAD src0_sel:BYTE_0 src1_sel:DWORD
	v_lshrrev_b32_e32 v85, 21, v5
	v_sub_u16_e32 v79, v0, v2
	v_mov_b32_e32 v66, 2
	v_lshrrev_b16_e32 v81, 13, v70
	v_mul_lo_u16_e32 v8, 60, v85
	v_lshlrev_b32_sdwa v2, v66, v79 dst_sel:DWORD dst_unused:UNUSED_PAD src0_sel:DWORD src1_sel:BYTE_0
	v_mul_lo_u16_e32 v3, 60, v81
	v_sub_u16_e32 v87, v34, v8
	v_mul_u32_u24_sdwa v8, v36, s6 dst_sel:DWORD dst_unused:UNUSED_PAD src0_sel:WORD_0 src1_sel:DWORD
	s_waitcnt lgkmcnt(0)
	s_barrier
	v_sub_u16_e32 v82, v22, v3
	v_lshrrev_b32_e32 v88, 21, v8
	global_load_dword v92, v2, s[12:13] offset:200
	v_lshlrev_b32_sdwa v3, v66, v82 dst_sel:DWORD dst_unused:UNUSED_PAD src0_sel:DWORD src1_sel:BYTE_0
	global_load_dword v94, v3, s[12:13] offset:200
	v_mul_lo_u16_e32 v9, 60, v88
	v_lshlrev_b32_e32 v10, 2, v84
	global_load_dword v96, v10, s[12:13] offset:200
	v_lshlrev_b32_e32 v11, 2, v87
	global_load_dword v98, v11, s[12:13] offset:200
	v_sub_u16_e32 v89, v36, v9
	v_mul_u32_u24_sdwa v9, v38, s6 dst_sel:DWORD dst_unused:UNUSED_PAD src0_sel:WORD_0 src1_sel:DWORD
	v_lshrrev_b32_e32 v90, 21, v9
	v_mul_u32_u24_sdwa v60, v32, s6 dst_sel:DWORD dst_unused:UNUSED_PAD src0_sel:WORD_0 src1_sel:DWORD
	v_mul_u32_u24_sdwa v10, v18, s6 dst_sel:DWORD dst_unused:UNUSED_PAD src0_sel:WORD_0 src1_sel:DWORD
	v_mul_lo_u16_e32 v13, 60, v90
	v_lshrrev_b32_e32 v93, 21, v60
	v_lshrrev_b32_e32 v97, 21, v10
	v_sub_u16_e32 v91, v38, v13
	v_mul_lo_u16_e32 v3, 60, v93
	v_mul_lo_u16_e32 v13, 60, v97
	v_lshlrev_b32_e32 v12, 2, v89
	v_sub_u16_e32 v95, v32, v3
	v_sub_u16_e32 v99, v18, v13
	v_mul_u32_u24_sdwa v56, v19, s6 dst_sel:DWORD dst_unused:UNUSED_PAD src0_sel:WORD_0 src1_sel:DWORD
	v_lshlrev_b32_e32 v2, 2, v91
	v_lshlrev_b32_e32 v3, 2, v95
	v_lshlrev_b32_e32 v11, 2, v99
	global_load_dword v103, v12, s[12:13] offset:200
	global_load_dword v104, v2, s[12:13] offset:200
	;; [unrolled: 1-line block ×4, first 2 shown]
	v_mul_u32_u24_sdwa v12, v27, s6 dst_sel:DWORD dst_unused:UNUSED_PAD src0_sel:WORD_0 src1_sel:DWORD
	v_lshrrev_b32_e32 v109, 21, v56
	v_mul_u32_u24_sdwa v57, v24, s6 dst_sel:DWORD dst_unused:UNUSED_PAD src0_sel:WORD_0 src1_sel:DWORD
	v_lshrrev_b32_e32 v107, 21, v12
	v_mul_lo_u16_e32 v11, 60, v109
	v_lshrrev_b32_e32 v112, 21, v57
	v_mul_lo_u16_e32 v3, 60, v107
	v_sub_u16_e32 v110, v19, v11
	v_mul_lo_u16_e32 v11, 60, v112
	v_sub_u16_e32 v108, v27, v3
	v_sub_u16_e32 v113, v24, v11
	v_mul_u32_u24_sdwa v11, v30, s6 dst_sel:DWORD dst_unused:UNUSED_PAD src0_sel:WORD_0 src1_sel:DWORD
	v_mul_u32_u24_sdwa v58, v20, s6 dst_sel:DWORD dst_unused:UNUSED_PAD src0_sel:WORD_0 src1_sel:DWORD
	v_lshlrev_b32_e32 v3, 2, v108
	v_lshlrev_b32_e32 v13, 2, v110
	v_lshrrev_b32_e32 v115, 21, v11
	v_lshrrev_b32_e32 v121, 21, v58
	global_load_dword v117, v3, s[12:13] offset:200
	global_load_dword v120, v13, s[12:13] offset:200
	v_mul_lo_u16_e32 v3, 60, v115
	v_mul_lo_u16_e32 v13, 60, v121
	v_sub_u16_e32 v119, v30, v3
	v_sub_u16_e32 v124, v20, v13
	v_mul_u32_u24_sdwa v59, v25, s6 dst_sel:DWORD dst_unused:UNUSED_PAD src0_sel:WORD_0 src1_sel:DWORD
	v_lshlrev_b32_e32 v3, 2, v119
	v_lshlrev_b32_e32 v13, 2, v124
	v_lshrrev_b32_e32 v127, 21, v59
	global_load_dword v126, v3, s[12:13] offset:200
	global_load_dword v134, v13, s[12:13] offset:200
	v_mul_lo_u16_e32 v3, 60, v127
	v_sub_u16_e32 v128, v25, v3
	v_mul_u32_u24_sdwa v13, v31, s6 dst_sel:DWORD dst_unused:UNUSED_PAD src0_sel:WORD_0 src1_sel:DWORD
	v_lshlrev_b32_e32 v55, 2, v113
	v_lshlrev_b32_e32 v3, 2, v128
	v_lshrrev_b32_e32 v135, 21, v13
	global_load_dword v122, v55, s[12:13] offset:200
	global_load_dword v136, v3, s[12:13] offset:200
	v_mul_lo_u16_e32 v3, 60, v135
	v_sub_u16_e32 v137, v31, v3
	v_lshlrev_b32_e32 v3, 2, v137
	global_load_dword v138, v3, s[12:13] offset:200
	ds_read_u16 v139, v42 offset:3840
	ds_read_u16 v140, v42 offset:4096
	;; [unrolled: 1-line block ×7, first 2 shown]
	ds_read_u16 v146, v42
	v_mul_u32_u24_e32 v76, 0xf0, v76
	v_lshlrev_b32_sdwa v79, v4, v79 dst_sel:DWORD dst_unused:UNUSED_PAD src0_sel:DWORD src1_sel:BYTE_0
	v_add3_u32 v76, 0, v76, v79
	s_movk_i32 s0, 0x78
	v_add_u32_e32 v2, 0xffffff88, v0
	v_cmp_gt_u32_e64 s[0:1], s0, v0
	v_cndmask_b32_e64 v2, v2, v0, s[0:1]
	v_mov_b32_e32 v3, 0
	v_lshlrev_b64 v[74:75], 2, v[2:3]
	v_mov_b32_e32 v55, s13
	v_add_co_u32_e64 v74, s[0:1], s12, v74
	s_waitcnt vmcnt(14) lgkmcnt(7)
	v_mul_f16_sdwa v147, v139, v92 dst_sel:DWORD dst_unused:UNUSED_PAD src0_sel:DWORD src1_sel:WORD_1
	v_fma_f16 v147, v78, v92, -v147
	v_mul_f16_sdwa v78, v78, v92 dst_sel:DWORD dst_unused:UNUSED_PAD src0_sel:DWORD src1_sel:WORD_1
	v_fma_f16 v78, v139, v92, v78
	s_waitcnt vmcnt(13) lgkmcnt(6)
	v_mul_f16_sdwa v92, v140, v94 dst_sel:DWORD dst_unused:UNUSED_PAD src0_sel:DWORD src1_sel:WORD_1
	v_fma_f16 v92, v80, v94, -v92
	v_mul_f16_sdwa v80, v80, v94 dst_sel:DWORD dst_unused:UNUSED_PAD src0_sel:DWORD src1_sel:WORD_1
	v_fma_f16 v80, v140, v94, v80
	;; [unrolled: 5-line block ×4, first 2 shown]
	v_sub_f16_e32 v79, v77, v147
	v_fma_f16 v77, v77, 2.0, -v79
	v_addc_co_u32_e64 v75, s[0:1], v55, v75, s[0:1]
	v_lshlrev_b32_e32 v2, 1, v2
	s_movk_i32 s6, 0x1e0
	s_waitcnt vmcnt(10) lgkmcnt(3)
	v_mul_f16_sdwa v100, v143, v103 dst_sel:DWORD dst_unused:UNUSED_PAD src0_sel:DWORD src1_sel:WORD_1
	v_fma_f16 v100, v101, v103, -v100
	v_mul_f16_sdwa v101, v101, v103 dst_sel:DWORD dst_unused:UNUSED_PAD src0_sel:DWORD src1_sel:WORD_1
	v_fma_f16 v101, v143, v103, v101
	s_waitcnt vmcnt(9) lgkmcnt(2)
	v_mul_f16_sdwa v103, v144, v104 dst_sel:DWORD dst_unused:UNUSED_PAD src0_sel:DWORD src1_sel:WORD_1
	v_fma_f16 v103, v102, v104, -v103
	v_mul_f16_sdwa v102, v102, v104 dst_sel:DWORD dst_unused:UNUSED_PAD src0_sel:DWORD src1_sel:WORD_1
	v_fma_f16 v102, v144, v104, v102
	;; [unrolled: 5-line block ×3, first 2 shown]
	ds_read_u16 v111, v42 offset:5632
	ds_read_u16 v139, v42 offset:5888
	;; [unrolled: 1-line block ×8, first 2 shown]
	s_waitcnt vmcnt(7) lgkmcnt(7)
	v_mul_f16_sdwa v148, v111, v106 dst_sel:DWORD dst_unused:UNUSED_PAD src0_sel:DWORD src1_sel:WORD_1
	v_fma_f16 v148, v118, v106, -v148
	v_mul_f16_sdwa v118, v118, v106 dst_sel:DWORD dst_unused:UNUSED_PAD src0_sel:DWORD src1_sel:WORD_1
	v_fma_f16 v106, v111, v106, v118
	s_waitcnt vmcnt(6) lgkmcnt(6)
	v_mul_f16_sdwa v111, v139, v117 dst_sel:DWORD dst_unused:UNUSED_PAD src0_sel:DWORD src1_sel:WORD_1
	v_mul_f16_sdwa v118, v123, v117 dst_sel:DWORD dst_unused:UNUSED_PAD src0_sel:DWORD src1_sel:WORD_1
	v_fma_f16 v111, v123, v117, -v111
	v_fma_f16 v117, v139, v117, v118
	s_waitcnt vmcnt(5) lgkmcnt(5)
	v_mul_f16_sdwa v118, v140, v120 dst_sel:DWORD dst_unused:UNUSED_PAD src0_sel:DWORD src1_sel:WORD_1
	v_mul_f16_sdwa v123, v125, v120 dst_sel:DWORD dst_unused:UNUSED_PAD src0_sel:DWORD src1_sel:WORD_1
	v_fma_f16 v118, v125, v120, -v118
	;; [unrolled: 5-line block ×3, first 2 shown]
	v_fma_f16 v122, v141, v122, v125
	s_waitcnt lgkmcnt(3)
	v_mul_f16_sdwa v125, v142, v126 dst_sel:DWORD dst_unused:UNUSED_PAD src0_sel:DWORD src1_sel:WORD_1
	v_mul_f16_sdwa v129, v130, v126 dst_sel:DWORD dst_unused:UNUSED_PAD src0_sel:DWORD src1_sel:WORD_1
	v_fma_f16 v125, v130, v126, -v125
	v_fma_f16 v126, v142, v126, v129
	s_waitcnt lgkmcnt(2)
	v_mul_f16_sdwa v129, v143, v134 dst_sel:DWORD dst_unused:UNUSED_PAD src0_sel:DWORD src1_sel:WORD_1
	v_mul_f16_sdwa v130, v131, v134 dst_sel:DWORD dst_unused:UNUSED_PAD src0_sel:DWORD src1_sel:WORD_1
	v_fma_f16 v129, v131, v134, -v129
	v_fma_f16 v130, v143, v134, v130
	s_waitcnt vmcnt(1) lgkmcnt(1)
	v_mul_f16_sdwa v131, v144, v136 dst_sel:DWORD dst_unused:UNUSED_PAD src0_sel:DWORD src1_sel:WORD_1
	s_waitcnt vmcnt(0) lgkmcnt(0)
	v_mul_f16_sdwa v134, v145, v138 dst_sel:DWORD dst_unused:UNUSED_PAD src0_sel:DWORD src1_sel:WORD_1
	v_fma_f16 v131, v132, v136, -v131
	v_mul_f16_sdwa v132, v132, v136 dst_sel:DWORD dst_unused:UNUSED_PAD src0_sel:DWORD src1_sel:WORD_1
	v_fma_f16 v134, v133, v138, -v134
	v_mul_f16_sdwa v133, v133, v138 dst_sel:DWORD dst_unused:UNUSED_PAD src0_sel:DWORD src1_sel:WORD_1
	v_fma_f16 v132, v144, v136, v132
	v_fma_f16 v133, v145, v138, v133
	ds_read_u16 v136, v43
	ds_read_u16 v138, v47
	;; [unrolled: 1-line block ×14, first 2 shown]
	s_waitcnt lgkmcnt(0)
	s_barrier
	ds_write_b16 v76, v77
	ds_write_b16 v76, v79 offset:120
	v_mul_u32_u24_e32 v77, 0xf0, v81
	v_lshlrev_b32_sdwa v79, v4, v82 dst_sel:DWORD dst_unused:UNUSED_PAD src0_sel:DWORD src1_sel:BYTE_0
	v_add3_u32 v77, 0, v77, v79
	v_sub_f16_e32 v79, v116, v92
	v_fma_f16 v81, v116, 2.0, -v79
	ds_write_b16 v77, v81
	ds_write_b16 v77, v79 offset:120
	v_mul_u32_u24_e32 v79, 0xf0, v83
	v_lshlrev_b32_e32 v81, 1, v84
	v_add3_u32 v79, 0, v79, v81
	v_sub_f16_e32 v81, v114, v94
	v_fma_f16 v82, v114, 2.0, -v81
	ds_write_b16 v79, v82
	ds_write_b16 v79, v81 offset:120
	v_mul_u32_u24_e32 v81, 0xf0, v85
	v_lshlrev_b32_e32 v82, 1, v87
	;; [unrolled: 7-line block ×13, first 2 shown]
	v_add3_u32 v7, 0, v7, v82
	v_sub_f16_e32 v82, v6, v134
	v_fma_f16 v6, v6, 2.0, -v82
	ds_write_b16 v7, v6
	ds_write_b16 v7, v82 offset:120
	v_sub_f16_e32 v6, v146, v78
	v_fma_f16 v78, v146, 2.0, -v6
	s_waitcnt lgkmcnt(0)
	s_barrier
	ds_read_u16 v82, v43
	ds_read_u16 v83, v42
	ds_read_u16 v84, v42 offset:3840
	ds_read_u16 v85, v42 offset:4096
	ds_read_u16 v87, v42 offset:4352
	ds_read_u16 v88, v42 offset:4608
	ds_read_u16 v89, v42 offset:4864
	ds_read_u16 v90, v42 offset:5120
	ds_read_u16 v91, v42 offset:5376
	ds_read_u16 v92, v47
	ds_read_u16 v93, v48
	;; [unrolled: 1-line block ×13, first 2 shown]
	ds_read_u16 v110, v42 offset:5632
	ds_read_u16 v111, v42 offset:5888
	;; [unrolled: 1-line block ×8, first 2 shown]
	s_waitcnt lgkmcnt(0)
	s_barrier
	ds_write_b16 v76, v78
	ds_write_b16 v76, v6 offset:120
	v_sub_f16_e32 v6, v151, v80
	v_fma_f16 v76, v151, 2.0, -v6
	ds_write_b16 v77, v76
	ds_write_b16 v77, v6 offset:120
	v_sub_f16_e32 v6, v150, v86
	v_fma_f16 v76, v150, 2.0, -v6
	ds_write_b16 v79, v76
	ds_write_b16 v79, v6 offset:120
	v_sub_f16_e32 v6, v143, v98
	v_fma_f16 v76, v143, 2.0, -v6
	ds_write_b16 v81, v76
	ds_write_b16 v81, v6 offset:120
	v_sub_f16_e32 v6, v142, v101
	v_fma_f16 v76, v142, 2.0, -v6
	ds_write_b16 v73, v76
	ds_write_b16 v73, v6 offset:120
	v_sub_f16_e32 v6, v136, v102
	v_fma_f16 v73, v136, 2.0, -v6
	ds_write_b16 v72, v73
	ds_write_b16 v72, v6 offset:120
	v_sub_f16_e32 v6, v138, v105
	v_fma_f16 v72, v138, 2.0, -v6
	ds_write_b16 v67, v72
	ds_write_b16 v67, v6 offset:120
	v_sub_f16_e32 v6, v139, v106
	v_fma_f16 v67, v139, 2.0, -v6
	ds_write_b16 v71, v67
	ds_write_b16 v71, v6 offset:120
	v_sub_f16_e32 v6, v140, v117
	v_fma_f16 v67, v140, 2.0, -v6
	ds_write_b16 v68, v67
	ds_write_b16 v68, v6 offset:120
	v_sub_f16_e32 v6, v141, v120
	v_fma_f16 v67, v141, 2.0, -v6
	ds_write_b16 v65, v67
	ds_write_b16 v65, v6 offset:120
	v_sub_f16_e32 v6, v144, v122
	v_fma_f16 v65, v144, 2.0, -v6
	ds_write_b16 v64, v65
	ds_write_b16 v64, v6 offset:120
	v_sub_f16_e32 v6, v145, v126
	v_fma_f16 v64, v145, 2.0, -v6
	ds_write_b16 v63, v64
	ds_write_b16 v63, v6 offset:120
	v_sub_f16_e32 v6, v147, v130
	v_fma_f16 v63, v147, 2.0, -v6
	ds_write_b16 v62, v63
	ds_write_b16 v62, v6 offset:120
	v_sub_f16_e32 v6, v149, v132
	v_fma_f16 v62, v149, 2.0, -v6
	ds_write_b16 v61, v62
	ds_write_b16 v61, v6 offset:120
	v_sub_f16_e32 v6, v152, v133
	v_fma_f16 v61, v152, 2.0, -v6
	ds_write_b16 v7, v61
	ds_write_b16 v7, v6 offset:120
	v_lshrrev_b16_e32 v61, 14, v70
	v_lshrrev_b32_e32 v63, 22, v69
	v_mul_lo_u16_e32 v6, 0x78, v61
	v_mul_lo_u16_e32 v7, 0x78, v63
	v_sub_u16_e32 v62, v22, v6
	v_sub_u16_e32 v65, v28, v7
	v_lshlrev_b32_sdwa v6, v66, v62 dst_sel:DWORD dst_unused:UNUSED_PAD src0_sel:DWORD src1_sel:BYTE_0
	v_lshlrev_b32_e32 v7, 2, v65
	v_lshrrev_b32_e32 v70, 22, v8
	s_waitcnt lgkmcnt(0)
	s_barrier
	global_load_dword v64, v[74:75], off offset:440
	global_load_dword v69, v7, s[12:13] offset:440
	global_load_dword v67, v6, s[12:13] offset:440
	v_mul_lo_u16_e32 v7, 0x78, v70
	v_lshrrev_b32_e32 v73, 22, v9
	v_lshrrev_b32_e32 v66, 22, v5
	v_sub_u16_e32 v71, v36, v7
	v_mul_lo_u16_e32 v7, 0x78, v73
	v_lshrrev_b32_e32 v102, 22, v56
	v_mul_lo_u16_e32 v6, 0x78, v66
	v_sub_u16_e32 v75, v38, v7
	v_mul_lo_u16_e32 v7, 0x78, v102
	v_sub_u16_e32 v68, v34, v6
	v_sub_u16_e32 v105, v19, v7
	v_lshlrev_b32_e32 v6, 2, v68
	v_lshlrev_b32_e32 v7, 2, v105
	v_lshrrev_b32_e32 v120, 22, v11
	global_load_dword v72, v6, s[12:13] offset:440
	global_load_dword v121, v7, s[12:13] offset:440
	v_mul_lo_u16_e32 v7, 0x78, v120
	v_sub_u16_e32 v122, v30, v7
	v_lshlrev_b32_e32 v6, 2, v71
	v_lshlrev_b32_e32 v7, 2, v122
	global_load_dword v74, v6, s[12:13] offset:440
	global_load_dword v126, v7, s[12:13] offset:440
	v_lshlrev_b32_e32 v6, 2, v75
	v_lshrrev_b32_e32 v76, 22, v60
	global_load_dword v77, v6, s[12:13] offset:440
	v_mul_lo_u16_e32 v6, 0x78, v76
	v_sub_u16_e32 v78, v32, v6
	v_lshlrev_b32_e32 v6, 2, v78
	v_lshrrev_b32_e32 v80, 22, v10
	global_load_dword v79, v6, s[12:13] offset:440
	v_mul_lo_u16_e32 v6, 0x78, v80
	v_sub_u16_e32 v81, v18, v6
	v_lshlrev_b32_e32 v6, 2, v81
	v_lshrrev_b32_e32 v98, 22, v12
	global_load_dword v86, v6, s[12:13] offset:440
	v_mul_lo_u16_e32 v6, 0x78, v98
	v_lshrrev_b32_e32 v106, 22, v57
	v_sub_u16_e32 v101, v27, v6
	v_mul_lo_u16_e32 v117, 0x78, v106
	v_lshlrev_b32_e32 v6, 2, v101
	v_sub_u16_e32 v117, v24, v117
	global_load_dword v119, v6, s[12:13] offset:440
	v_lshlrev_b32_e32 v6, 2, v117
	v_lshrrev_b32_e32 v124, 22, v58
	global_load_dword v123, v6, s[12:13] offset:440
	v_mul_lo_u16_e32 v6, 0x78, v124
	v_lshrrev_b32_e32 v127, 22, v59
	v_sub_u16_e32 v125, v20, v6
	v_mul_lo_u16_e32 v7, 0x78, v127
	v_lshlrev_b32_e32 v6, 2, v125
	v_sub_u16_e32 v129, v25, v7
	global_load_dword v128, v6, s[12:13] offset:440
	v_lshlrev_b32_e32 v6, 2, v129
	v_lshrrev_b32_e32 v130, 22, v13
	global_load_dword v131, v6, s[12:13] offset:440
	v_mul_lo_u16_e32 v6, 0x78, v130
	v_sub_u16_e32 v132, v31, v6
	v_lshlrev_b32_e32 v6, 2, v132
	global_load_dword v133, v6, s[12:13] offset:440
	v_lshlrev_b64 v[6:7], 2, v[0:1]
	ds_read_u16 v1, v42 offset:3840
	ds_read_u16 v134, v42 offset:4096
	;; [unrolled: 1-line block ×7, first 2 shown]
	ds_read_u16 v140, v42
	v_add_co_u32_e64 v6, s[0:1], s12, v6
	v_addc_co_u32_e64 v7, s[0:1], v55, v7, s[0:1]
	s_movk_i32 s0, 0x77
	v_cmp_lt_u32_e64 s[0:1], s0, v0
	v_lshlrev_b32_sdwa v4, v4, v62 dst_sel:DWORD dst_unused:UNUSED_PAD src0_sel:DWORD src1_sel:BYTE_0
	v_mul_u32_u24_e32 v61, 0x1e0, v61
	v_add3_u32 v4, 0, v61, v4
	v_lshrrev_b32_e32 v9, 23, v9
	s_waitcnt vmcnt(14) lgkmcnt(7)
	v_mul_f16_sdwa v141, v1, v64 dst_sel:DWORD dst_unused:UNUSED_PAD src0_sel:DWORD src1_sel:WORD_1
	v_fma_f16 v141, v84, v64, -v141
	v_mul_f16_sdwa v84, v84, v64 dst_sel:DWORD dst_unused:UNUSED_PAD src0_sel:DWORD src1_sel:WORD_1
	v_fma_f16 v1, v1, v64, v84
	s_waitcnt vmcnt(12) lgkmcnt(6)
	v_mul_f16_sdwa v64, v134, v67 dst_sel:DWORD dst_unused:UNUSED_PAD src0_sel:DWORD src1_sel:WORD_1
	v_mul_f16_sdwa v84, v85, v67 dst_sel:DWORD dst_unused:UNUSED_PAD src0_sel:DWORD src1_sel:WORD_1
	v_fma_f16 v64, v85, v67, -v64
	v_fma_f16 v67, v134, v67, v84
	s_waitcnt lgkmcnt(5)
	v_mul_f16_sdwa v84, v135, v69 dst_sel:DWORD dst_unused:UNUSED_PAD src0_sel:DWORD src1_sel:WORD_1
	v_mul_f16_sdwa v85, v87, v69 dst_sel:DWORD dst_unused:UNUSED_PAD src0_sel:DWORD src1_sel:WORD_1
	v_fma_f16 v84, v87, v69, -v84
	v_fma_f16 v69, v135, v69, v85
	v_sub_f16_e32 v61, v108, v64
	v_fma_f16 v62, v108, 2.0, -v61
	s_waitcnt lgkmcnt(0)
	v_sub_f16_e32 v1, v140, v1
	s_waitcnt vmcnt(11)
	v_mul_f16_sdwa v85, v136, v72 dst_sel:DWORD dst_unused:UNUSED_PAD src0_sel:DWORD src1_sel:WORD_1
	v_mul_f16_sdwa v87, v88, v72 dst_sel:DWORD dst_unused:UNUSED_PAD src0_sel:DWORD src1_sel:WORD_1
	v_fma_f16 v85, v88, v72, -v85
	v_fma_f16 v72, v136, v72, v87
	s_waitcnt vmcnt(9)
	v_mul_f16_sdwa v87, v137, v74 dst_sel:DWORD dst_unused:UNUSED_PAD src0_sel:DWORD src1_sel:WORD_1
	v_mul_f16_sdwa v88, v89, v74 dst_sel:DWORD dst_unused:UNUSED_PAD src0_sel:DWORD src1_sel:WORD_1
	v_fma_f16 v87, v89, v74, -v87
	v_fma_f16 v74, v137, v74, v88
	;; [unrolled: 5-line block ×4, first 2 shown]
	ds_read_u16 v90, v42 offset:5632
	ds_read_u16 v91, v42 offset:5888
	;; [unrolled: 1-line block ×8, first 2 shown]
	s_waitcnt vmcnt(5) lgkmcnt(7)
	v_mul_f16_sdwa v142, v90, v86 dst_sel:DWORD dst_unused:UNUSED_PAD src0_sel:DWORD src1_sel:WORD_1
	v_fma_f16 v142, v110, v86, -v142
	v_mul_f16_sdwa v110, v110, v86 dst_sel:DWORD dst_unused:UNUSED_PAD src0_sel:DWORD src1_sel:WORD_1
	v_fma_f16 v86, v90, v86, v110
	s_waitcnt vmcnt(4) lgkmcnt(6)
	v_mul_f16_sdwa v90, v91, v119 dst_sel:DWORD dst_unused:UNUSED_PAD src0_sel:DWORD src1_sel:WORD_1
	v_mul_f16_sdwa v110, v111, v119 dst_sel:DWORD dst_unused:UNUSED_PAD src0_sel:DWORD src1_sel:WORD_1
	v_fma_f16 v90, v111, v119, -v90
	v_fma_f16 v91, v91, v119, v110
	s_waitcnt lgkmcnt(5)
	v_mul_f16_sdwa v110, v134, v121 dst_sel:DWORD dst_unused:UNUSED_PAD src0_sel:DWORD src1_sel:WORD_1
	v_mul_f16_sdwa v111, v112, v121 dst_sel:DWORD dst_unused:UNUSED_PAD src0_sel:DWORD src1_sel:WORD_1
	v_fma_f16 v110, v112, v121, -v110
	v_fma_f16 v111, v134, v121, v111
	s_waitcnt vmcnt(3) lgkmcnt(4)
	v_mul_f16_sdwa v112, v135, v123 dst_sel:DWORD dst_unused:UNUSED_PAD src0_sel:DWORD src1_sel:WORD_1
	s_waitcnt lgkmcnt(3)
	v_mul_f16_sdwa v119, v136, v126 dst_sel:DWORD dst_unused:UNUSED_PAD src0_sel:DWORD src1_sel:WORD_1
	s_waitcnt vmcnt(2) lgkmcnt(2)
	v_mul_f16_sdwa v121, v137, v128 dst_sel:DWORD dst_unused:UNUSED_PAD src0_sel:DWORD src1_sel:WORD_1
	v_fma_f16 v121, v115, v128, -v121
	v_mul_f16_sdwa v115, v115, v128 dst_sel:DWORD dst_unused:UNUSED_PAD src0_sel:DWORD src1_sel:WORD_1
	v_fma_f16 v115, v137, v128, v115
	v_mov_b32_e32 v128, 0x1e0
	v_fma_f16 v112, v113, v123, -v112
	v_mul_f16_sdwa v113, v113, v123 dst_sel:DWORD dst_unused:UNUSED_PAD src0_sel:DWORD src1_sel:WORD_1
	v_fma_f16 v119, v114, v126, -v119
	v_mul_f16_sdwa v114, v114, v126 dst_sel:DWORD dst_unused:UNUSED_PAD src0_sel:DWORD src1_sel:WORD_1
	v_cndmask_b32_e64 v128, 0, v128, s[0:1]
	v_fma_f16 v113, v135, v123, v113
	v_fma_f16 v114, v136, v126, v114
	s_waitcnt vmcnt(1) lgkmcnt(1)
	v_mul_f16_sdwa v123, v138, v131 dst_sel:DWORD dst_unused:UNUSED_PAD src0_sel:DWORD src1_sel:WORD_1
	s_waitcnt vmcnt(0) lgkmcnt(0)
	v_mul_f16_sdwa v126, v139, v133 dst_sel:DWORD dst_unused:UNUSED_PAD src0_sel:DWORD src1_sel:WORD_1
	v_add3_u32 v2, 0, v128, v2
	v_sub_f16_e32 v128, v83, v141
	v_fma_f16 v123, v116, v131, -v123
	v_mul_f16_sdwa v116, v116, v131 dst_sel:DWORD dst_unused:UNUSED_PAD src0_sel:DWORD src1_sel:WORD_1
	v_fma_f16 v126, v118, v133, -v126
	v_mul_f16_sdwa v118, v118, v133 dst_sel:DWORD dst_unused:UNUSED_PAD src0_sel:DWORD src1_sel:WORD_1
	v_fma_f16 v83, v83, 2.0, -v128
	v_fma_f16 v116, v138, v131, v116
	v_fma_f16 v118, v139, v133, v118
	ds_read_u16 v131, v43
	ds_read_u16 v133, v47
	;; [unrolled: 1-line block ×14, first 2 shown]
	s_waitcnt lgkmcnt(0)
	s_barrier
	ds_write_b16 v2, v83
	ds_write_b16 v2, v128 offset:240
	ds_write_b16 v4, v62
	ds_write_b16 v4, v61 offset:240
	v_mul_u32_u24_e32 v61, 0x1e0, v63
	v_lshlrev_b32_e32 v62, 1, v65
	v_add3_u32 v61, 0, v61, v62
	v_sub_f16_e32 v62, v107, v84
	v_fma_f16 v63, v107, 2.0, -v62
	ds_write_b16 v61, v63
	ds_write_b16 v61, v62 offset:240
	v_mul_u32_u24_e32 v62, 0x1e0, v66
	v_lshlrev_b32_e32 v63, 1, v68
	v_add3_u32 v62, 0, v62, v63
	v_sub_f16_e32 v63, v97, v85
	v_fma_f16 v64, v97, 2.0, -v63
	ds_write_b16 v62, v64
	ds_write_b16 v62, v63 offset:240
	v_mul_u32_u24_e32 v63, 0x1e0, v70
	v_lshlrev_b32_e32 v64, 1, v71
	v_add3_u32 v63, 0, v63, v64
	v_sub_f16_e32 v64, v96, v87
	v_fma_f16 v65, v96, 2.0, -v64
	ds_write_b16 v63, v65
	ds_write_b16 v63, v64 offset:240
	v_mul_u32_u24_e32 v64, 0x1e0, v73
	v_lshlrev_b32_e32 v65, 1, v75
	v_add3_u32 v64, 0, v64, v65
	v_sub_f16_e32 v65, v82, v88
	v_fma_f16 v66, v82, 2.0, -v65
	ds_write_b16 v64, v66
	ds_write_b16 v64, v65 offset:240
	v_mul_u32_u24_e32 v65, 0x1e0, v76
	v_lshlrev_b32_e32 v66, 1, v78
	v_add3_u32 v65, 0, v65, v66
	v_sub_f16_e32 v66, v92, v89
	v_fma_f16 v68, v92, 2.0, -v66
	ds_write_b16 v65, v68
	ds_write_b16 v65, v66 offset:240
	v_mul_u32_u24_e32 v66, 0x1e0, v80
	v_lshlrev_b32_e32 v68, 1, v81
	v_add3_u32 v66, 0, v66, v68
	v_sub_f16_e32 v68, v93, v142
	v_fma_f16 v70, v93, 2.0, -v68
	ds_write_b16 v66, v70
	ds_write_b16 v66, v68 offset:240
	v_mul_u32_u24_e32 v68, 0x1e0, v98
	v_lshlrev_b32_e32 v70, 1, v101
	v_add3_u32 v68, 0, v68, v70
	v_sub_f16_e32 v70, v94, v90
	v_fma_f16 v71, v94, 2.0, -v70
	ds_write_b16 v68, v71
	ds_write_b16 v68, v70 offset:240
	v_mul_u32_u24_e32 v70, 0x1e0, v102
	v_lshlrev_b32_e32 v71, 1, v105
	v_add3_u32 v70, 0, v70, v71
	v_sub_f16_e32 v71, v95, v110
	v_fma_f16 v73, v95, 2.0, -v71
	ds_write_b16 v70, v73
	ds_write_b16 v70, v71 offset:240
	v_mul_u32_u24_e32 v71, 0x1e0, v106
	v_lshlrev_b32_e32 v73, 1, v117
	v_add3_u32 v71, 0, v71, v73
	v_sub_f16_e32 v73, v99, v112
	v_fma_f16 v75, v99, 2.0, -v73
	ds_write_b16 v71, v75
	ds_write_b16 v71, v73 offset:240
	v_mul_u32_u24_e32 v73, 0x1e0, v120
	v_lshlrev_b32_e32 v75, 1, v122
	v_add3_u32 v73, 0, v73, v75
	v_sub_f16_e32 v75, v100, v119
	v_fma_f16 v76, v100, 2.0, -v75
	ds_write_b16 v73, v76
	ds_write_b16 v73, v75 offset:240
	v_mul_u32_u24_e32 v75, 0x1e0, v124
	v_lshlrev_b32_e32 v76, 1, v125
	v_add3_u32 v75, 0, v75, v76
	v_sub_f16_e32 v76, v103, v121
	v_fma_f16 v78, v103, 2.0, -v76
	ds_write_b16 v75, v78
	ds_write_b16 v75, v76 offset:240
	v_mul_u32_u24_e32 v76, 0x1e0, v127
	v_lshlrev_b32_e32 v78, 1, v129
	v_add3_u32 v76, 0, v76, v78
	v_sub_f16_e32 v78, v104, v123
	v_fma_f16 v80, v104, 2.0, -v78
	ds_write_b16 v76, v80
	ds_write_b16 v76, v78 offset:240
	v_mul_u32_u24_e32 v78, 0x1e0, v130
	v_lshlrev_b32_e32 v80, 1, v132
	v_add3_u32 v78, 0, v78, v80
	v_sub_f16_e32 v80, v109, v126
	v_fma_f16 v81, v109, 2.0, -v80
	ds_write_b16 v78, v81
	ds_write_b16 v78, v80 offset:240
	v_fma_f16 v80, v140, 2.0, -v1
	s_waitcnt lgkmcnt(0)
	s_barrier
	ds_read_u16 v81, v43
	ds_read_u16 v82, v42
	ds_read_u16 v83, v42 offset:3840
	ds_read_u16 v84, v42 offset:4096
	;; [unrolled: 1-line block ×7, first 2 shown]
	ds_read_u16 v92, v47
	ds_read_u16 v93, v48
	;; [unrolled: 1-line block ×13, first 2 shown]
	ds_read_u16 v105, v42 offset:5632
	ds_read_u16 v106, v42 offset:5888
	;; [unrolled: 1-line block ×8, first 2 shown]
	s_waitcnt lgkmcnt(0)
	s_barrier
	ds_write_b16 v2, v80
	ds_write_b16 v2, v1 offset:240
	v_sub_f16_e32 v1, v146, v67
	v_fma_f16 v2, v146, 2.0, -v1
	ds_write_b16 v4, v2
	ds_write_b16 v4, v1 offset:240
	v_sub_f16_e32 v1, v145, v69
	v_fma_f16 v2, v145, 2.0, -v1
	;; [unrolled: 4-line block ×7, first 2 shown]
	ds_write_b16 v66, v1 offset:240
	v_sub_f16_e32 v1, v135, v91
	ds_write_b16 v66, v2
	v_fma_f16 v2, v135, 2.0, -v1
	ds_write_b16 v68, v2
	ds_write_b16 v68, v1 offset:240
	v_sub_f16_e32 v1, v136, v111
	v_fma_f16 v2, v136, 2.0, -v1
	ds_write_b16 v70, v2
	ds_write_b16 v70, v1 offset:240
	v_sub_f16_e32 v1, v139, v113
	;; [unrolled: 4-line block ×6, first 2 shown]
	s_movk_i32 s0, 0xf0
	v_fma_f16 v2, v147, 2.0, -v1
	ds_write_b16 v78, v2
	ds_write_b16 v78, v1 offset:240
	v_add_u32_e32 v2, 0xffffff90, v0
	v_cmp_gt_u32_e64 s[0:1], s0, v22
	v_cndmask_b32_e64 v2, v2, v22, s[0:1]
	v_lshlrev_b64 v[61:62], 2, v[2:3]
	s_waitcnt lgkmcnt(0)
	v_add_co_u32_e64 v61, s[0:1], s12, v61
	s_barrier
	global_load_dword v1, v[6:7], off offset:920
	v_addc_co_u32_e64 v62, s[0:1], v55, v62, s[0:1]
	global_load_dword v63, v[6:7], off offset:984
	global_load_dword v64, v[61:62], off offset:920
	v_lshrrev_b32_e32 v61, 23, v5
	v_mul_lo_u16_e32 v4, 0xf0, v61
	v_lshrrev_b32_e32 v5, 23, v8
	v_sub_u16_e32 v62, v34, v4
	v_mul_lo_u16_e32 v5, 0xf0, v5
	v_lshlrev_b32_e32 v4, 2, v62
	v_sub_u16_e32 v8, v36, v5
	v_mul_lo_u16_e32 v5, 0xf0, v9
	global_load_dword v65, v4, s[12:13] offset:920
	v_lshlrev_b32_e32 v4, 2, v8
	v_sub_u16_e32 v67, v38, v5
	global_load_dword v66, v4, s[12:13] offset:920
	v_lshlrev_b32_e32 v4, 2, v67
	v_lshrrev_b32_e32 v5, 23, v60
	global_load_dword v60, v4, s[12:13] offset:920
	v_mul_lo_u16_e32 v4, 0xf0, v5
	v_sub_u16_e32 v68, v32, v4
	v_lshlrev_b32_e32 v4, 2, v68
	v_lshrrev_b32_e32 v70, 23, v10
	global_load_dword v69, v4, s[12:13] offset:920
	v_mul_lo_u16_e32 v4, 0xf0, v70
	v_lshrrev_b32_e32 v5, 23, v12
	v_lshrrev_b32_e32 v73, 23, v56
	v_sub_u16_e32 v71, v18, v4
	v_mul_lo_u16_e32 v5, 0xf0, v5
	v_mul_lo_u16_e32 v74, 0xf0, v73
	v_lshlrev_b32_e32 v4, 2, v71
	v_sub_u16_e32 v72, v27, v5
	v_sub_u16_e32 v74, v19, v74
	v_lshlrev_b32_e32 v5, 2, v72
	global_load_dword v75, v4, s[12:13] offset:920
	v_lshlrev_b32_e32 v4, 2, v74
	global_load_dword v76, v5, s[12:13] offset:920
	global_load_dword v77, v4, s[12:13] offset:920
	v_lshrrev_b32_e32 v4, 23, v57
	v_lshrrev_b32_e32 v79, 23, v11
	v_mul_lo_u16_e32 v4, 0xf0, v4
	v_mul_lo_u16_e32 v5, 0xf0, v79
	v_sub_u16_e32 v78, v24, v4
	v_sub_u16_e32 v80, v30, v5
	v_lshlrev_b32_e32 v4, 2, v78
	v_lshlrev_b32_e32 v5, 2, v80
	global_load_dword v86, v4, s[12:13] offset:920
	global_load_dword v111, v5, s[12:13] offset:920
	v_lshrrev_b32_e32 v4, 23, v58
	v_mul_lo_u16_e32 v4, 0xf0, v4
	v_lshrrev_b32_e32 v113, 23, v59
	v_sub_u16_e32 v91, v20, v4
	v_mul_lo_u16_e32 v5, 0xf0, v113
	v_lshlrev_b32_e32 v4, 2, v91
	v_sub_u16_e32 v115, v25, v5
	global_load_dword v114, v4, s[12:13] offset:920
	v_lshlrev_b32_e32 v4, 2, v115
	v_lshrrev_b32_e32 v5, 23, v13
	global_load_dword v116, v4, s[12:13] offset:920
	v_mul_lo_u16_e32 v4, 0xf0, v5
	v_sub_u16_e32 v118, v31, v4
	v_lshlrev_b32_e32 v4, 2, v118
	global_load_dword v119, v4, s[12:13] offset:920
	v_lshlrev_b64 v[4:5], 2, v[22:23]
	ds_read_u16 v23, v42 offset:3840
	ds_read_u16 v120, v42 offset:4096
	;; [unrolled: 1-line block ×7, first 2 shown]
	ds_read_u16 v126, v42
	v_add_co_u32_e64 v4, s[0:1], s12, v4
	v_addc_co_u32_e64 v5, s[0:1], v55, v5, s[0:1]
	s_movk_i32 s0, 0xef
	v_cmp_lt_u32_e64 s[0:1], s0, v22
	v_lshlrev_b32_e32 v2, 1, v2
	v_mul_u32_u24_e32 v61, 0x3c0, v61
	v_lshlrev_b32_e32 v62, 1, v62
	v_add3_u32 v61, 0, v61, v62
	v_lshl_add_u32 v8, v8, 1, 0
	v_mul_u32_u24_e32 v9, 0x3c0, v9
	v_lshl_add_u32 v68, v68, 1, 0
	v_mul_lo_u16_sdwa v12, v12, s6 dst_sel:DWORD dst_unused:UNUSED_PAD src0_sel:BYTE_3 src1_sel:DWORD
	v_sub_u16_e32 v12, v27, v12
	v_mul_lo_u16_sdwa v56, v56, s6 dst_sel:DWORD dst_unused:UNUSED_PAD src0_sel:BYTE_3 src1_sel:DWORD
	s_waitcnt vmcnt(14) lgkmcnt(7)
	v_mul_f16_sdwa v127, v23, v1 dst_sel:DWORD dst_unused:UNUSED_PAD src0_sel:DWORD src1_sel:WORD_1
	v_fma_f16 v127, v83, v1, -v127
	v_mul_f16_sdwa v83, v83, v1 dst_sel:DWORD dst_unused:UNUSED_PAD src0_sel:DWORD src1_sel:WORD_1
	v_fma_f16 v23, v23, v1, v83
	s_waitcnt vmcnt(12) lgkmcnt(6)
	v_mul_f16_sdwa v1, v120, v64 dst_sel:DWORD dst_unused:UNUSED_PAD src0_sel:DWORD src1_sel:WORD_1
	v_mul_f16_sdwa v83, v84, v64 dst_sel:DWORD dst_unused:UNUSED_PAD src0_sel:DWORD src1_sel:WORD_1
	v_fma_f16 v1, v84, v64, -v1
	v_fma_f16 v64, v120, v64, v83
	s_waitcnt lgkmcnt(5)
	v_mul_f16_sdwa v83, v121, v63 dst_sel:DWORD dst_unused:UNUSED_PAD src0_sel:DWORD src1_sel:WORD_1
	v_mul_f16_sdwa v84, v85, v63 dst_sel:DWORD dst_unused:UNUSED_PAD src0_sel:DWORD src1_sel:WORD_1
	v_fma_f16 v83, v85, v63, -v83
	v_fma_f16 v63, v121, v63, v84
	s_waitcnt vmcnt(11) lgkmcnt(4)
	v_mul_f16_sdwa v84, v122, v65 dst_sel:DWORD dst_unused:UNUSED_PAD src0_sel:DWORD src1_sel:WORD_1
	v_mul_f16_sdwa v85, v87, v65 dst_sel:DWORD dst_unused:UNUSED_PAD src0_sel:DWORD src1_sel:WORD_1
	v_fma_f16 v84, v87, v65, -v84
	v_fma_f16 v65, v122, v65, v85
	s_waitcnt vmcnt(10) lgkmcnt(3)
	v_mul_f16_sdwa v85, v123, v66 dst_sel:DWORD dst_unused:UNUSED_PAD src0_sel:DWORD src1_sel:WORD_1
	v_mul_f16_sdwa v87, v88, v66 dst_sel:DWORD dst_unused:UNUSED_PAD src0_sel:DWORD src1_sel:WORD_1
	v_fma_f16 v85, v88, v66, -v85
	v_fma_f16 v66, v123, v66, v87
	s_waitcnt vmcnt(9) lgkmcnt(2)
	v_mul_f16_sdwa v87, v124, v60 dst_sel:DWORD dst_unused:UNUSED_PAD src0_sel:DWORD src1_sel:WORD_1
	v_mul_f16_sdwa v88, v89, v60 dst_sel:DWORD dst_unused:UNUSED_PAD src0_sel:DWORD src1_sel:WORD_1
	v_fma_f16 v87, v89, v60, -v87
	v_fma_f16 v60, v124, v60, v88
	s_waitcnt vmcnt(8) lgkmcnt(1)
	v_mul_f16_sdwa v88, v125, v69 dst_sel:DWORD dst_unused:UNUSED_PAD src0_sel:DWORD src1_sel:WORD_1
	v_mul_f16_sdwa v89, v90, v69 dst_sel:DWORD dst_unused:UNUSED_PAD src0_sel:DWORD src1_sel:WORD_1
	v_fma_f16 v88, v90, v69, -v88
	v_fma_f16 v69, v125, v69, v89
	ds_read_u16 v89, v42 offset:5632
	ds_read_u16 v90, v42 offset:5888
	;; [unrolled: 1-line block ×8, first 2 shown]
	v_sub_f16_e32 v1, v103, v1
	v_sub_f16_e32 v62, v97, v84
	s_waitcnt lgkmcnt(8)
	v_sub_f16_e32 v23, v126, v23
	v_sub_u16_e32 v56, v19, v56
	v_mul_lo_u16_sdwa v57, v57, s6 dst_sel:DWORD dst_unused:UNUSED_PAD src0_sel:BYTE_3 src1_sel:DWORD
	s_waitcnt vmcnt(7) lgkmcnt(7)
	v_mul_f16_sdwa v128, v89, v75 dst_sel:DWORD dst_unused:UNUSED_PAD src0_sel:DWORD src1_sel:WORD_1
	v_fma_f16 v128, v105, v75, -v128
	v_mul_f16_sdwa v105, v105, v75 dst_sel:DWORD dst_unused:UNUSED_PAD src0_sel:DWORD src1_sel:WORD_1
	v_fma_f16 v75, v89, v75, v105
	s_waitcnt vmcnt(6) lgkmcnt(6)
	v_mul_f16_sdwa v89, v90, v76 dst_sel:DWORD dst_unused:UNUSED_PAD src0_sel:DWORD src1_sel:WORD_1
	v_mul_f16_sdwa v105, v106, v76 dst_sel:DWORD dst_unused:UNUSED_PAD src0_sel:DWORD src1_sel:WORD_1
	v_fma_f16 v89, v106, v76, -v89
	v_fma_f16 v76, v90, v76, v105
	s_waitcnt vmcnt(5) lgkmcnt(5)
	v_mul_f16_sdwa v90, v120, v77 dst_sel:DWORD dst_unused:UNUSED_PAD src0_sel:DWORD src1_sel:WORD_1
	v_mul_f16_sdwa v105, v107, v77 dst_sel:DWORD dst_unused:UNUSED_PAD src0_sel:DWORD src1_sel:WORD_1
	v_fma_f16 v90, v107, v77, -v90
	;; [unrolled: 5-line block ×4, first 2 shown]
	v_fma_f16 v107, v122, v111, v107
	s_waitcnt vmcnt(2) lgkmcnt(2)
	v_mul_f16_sdwa v108, v123, v114 dst_sel:DWORD dst_unused:UNUSED_PAD src0_sel:DWORD src1_sel:WORD_1
	v_fma_f16 v108, v110, v114, -v108
	v_mul_f16_sdwa v109, v110, v114 dst_sel:DWORD dst_unused:UNUSED_PAD src0_sel:DWORD src1_sel:WORD_1
	s_waitcnt vmcnt(1) lgkmcnt(1)
	v_mul_f16_sdwa v110, v124, v116 dst_sel:DWORD dst_unused:UNUSED_PAD src0_sel:DWORD src1_sel:WORD_1
	v_mul_f16_sdwa v111, v112, v116 dst_sel:DWORD dst_unused:UNUSED_PAD src0_sel:DWORD src1_sel:WORD_1
	v_fma_f16 v110, v112, v116, -v110
	v_fma_f16 v111, v124, v116, v111
	v_sub_f16_e32 v116, v82, v127
	v_fma_f16 v109, v123, v114, v109
	s_waitcnt vmcnt(0) lgkmcnt(0)
	v_mul_f16_sdwa v112, v125, v119 dst_sel:DWORD dst_unused:UNUSED_PAD src0_sel:DWORD src1_sel:WORD_1
	v_mul_f16_sdwa v114, v117, v119 dst_sel:DWORD dst_unused:UNUSED_PAD src0_sel:DWORD src1_sel:WORD_1
	v_fma_f16 v82, v82, 2.0, -v116
	v_fma_f16 v112, v117, v119, -v112
	v_fma_f16 v114, v125, v119, v114
	ds_read_u16 v117, v26
	ds_read_u16 v119, v21
	;; [unrolled: 1-line block ×14, first 2 shown]
	s_waitcnt lgkmcnt(0)
	s_barrier
	ds_write_b16 v42, v82
	ds_write_b16 v42, v116 offset:480
	v_mov_b32_e32 v82, 0x3c0
	v_cndmask_b32_e64 v82, 0, v82, s[0:1]
	v_add3_u32 v2, 0, v82, v2
	v_fma_f16 v82, v103, 2.0, -v1
	ds_write_b16 v2, v82
	ds_write_b16 v2, v1 offset:480
	v_sub_f16_e32 v82, v102, v83
	v_fma_f16 v83, v102, 2.0, -v82
	v_lshl_add_u32 v1, v0, 1, 0
	ds_write_b16 v1, v83 offset:992
	ds_write_b16 v1, v82 offset:1472
	v_fma_f16 v82, v97, 2.0, -v62
	ds_write_b16 v61, v82
	ds_write_b16 v61, v62 offset:480
	v_sub_f16_e32 v62, v96, v85
	v_fma_f16 v82, v96, 2.0, -v62
	ds_write_b16 v8, v82 offset:1920
	ds_write_b16 v8, v62 offset:2400
	v_lshlrev_b32_e32 v62, 1, v67
	v_add3_u32 v9, 0, v9, v62
	v_sub_f16_e32 v62, v81, v87
	v_fma_f16 v67, v81, 2.0, -v62
	ds_write_b16 v9, v67
	ds_write_b16 v9, v62 offset:480
	v_sub_f16_e32 v62, v92, v88
	v_fma_f16 v67, v92, 2.0, -v62
	ds_write_b16 v68, v67 offset:2880
	ds_write_b16 v68, v62 offset:3360
	v_mul_u32_u24_e32 v62, 0x3c0, v70
	v_lshlrev_b32_e32 v67, 1, v71
	v_add3_u32 v62, 0, v62, v67
	v_sub_f16_e32 v67, v93, v128
	v_fma_f16 v70, v93, 2.0, -v67
	ds_write_b16 v62, v70
	ds_write_b16 v62, v67 offset:480
	v_sub_f16_e32 v67, v94, v89
	v_fma_f16 v70, v94, 2.0, -v67
	v_lshl_add_u32 v71, v72, 1, 0
	ds_write_b16 v71, v70 offset:3840
	ds_write_b16 v71, v67 offset:4320
	v_mul_u32_u24_e32 v67, 0x3c0, v73
	v_lshlrev_b32_e32 v70, 1, v74
	v_add3_u32 v67, 0, v67, v70
	v_sub_f16_e32 v70, v95, v90
	v_fma_f16 v72, v95, 2.0, -v70
	ds_write_b16 v67, v72
	ds_write_b16 v67, v70 offset:480
	v_sub_f16_e32 v70, v98, v105
	v_fma_f16 v72, v98, 2.0, -v70
	v_lshl_add_u32 v73, v78, 1, 0
	;; [unrolled: 12-line block ×4, first 2 shown]
	ds_write_b16 v80, v79 offset:6720
	ds_write_b16 v80, v74 offset:7200
	v_fma_f16 v74, v126, 2.0, -v23
	s_waitcnt lgkmcnt(0)
	s_barrier
	ds_read_u16 v79, v43
	ds_read_u16 v81, v42
	ds_read_u16 v82, v42 offset:3840
	ds_read_u16 v83, v42 offset:4096
	;; [unrolled: 1-line block ×7, first 2 shown]
	ds_read_u16 v90, v47
	ds_read_u16 v91, v48
	;; [unrolled: 1-line block ×13, first 2 shown]
	ds_read_u16 v103, v42 offset:5632
	ds_read_u16 v104, v42 offset:5888
	;; [unrolled: 1-line block ×8, first 2 shown]
	s_waitcnt lgkmcnt(0)
	s_barrier
	ds_write_b16 v42, v74
	ds_write_b16 v42, v23 offset:480
	v_sub_f16_e32 v23, v117, v64
	v_fma_f16 v64, v117, 2.0, -v23
	ds_write_b16 v2, v64
	ds_write_b16 v2, v23 offset:480
	v_sub_f16_e32 v2, v119, v63
	v_fma_f16 v23, v119, 2.0, -v2
	ds_write_b16 v1, v23 offset:992
	ds_write_b16 v1, v2 offset:1472
	v_sub_f16_e32 v2, v127, v65
	v_fma_f16 v23, v127, 2.0, -v2
	ds_write_b16 v61, v23
	ds_write_b16 v61, v2 offset:480
	v_sub_f16_e32 v2, v125, v66
	v_fma_f16 v23, v125, 2.0, -v2
	ds_write_b16 v8, v23 offset:1920
	;; [unrolled: 8-line block ×5, first 2 shown]
	ds_write_b16 v73, v2 offset:5280
	v_sub_f16_e32 v2, v130, v107
	v_fma_f16 v23, v130, 2.0, -v2
	ds_write_b16 v70, v23
	ds_write_b16 v70, v2 offset:480
	v_sub_f16_e32 v2, v131, v109
	v_fma_f16 v23, v131, 2.0, -v2
	v_lshlrev_b64 v[8:9], 2, v[28:29]
	ds_write_b16 v78, v23 offset:5760
	ds_write_b16 v78, v2 offset:6240
	v_sub_f16_e32 v2, v132, v111
	v_fma_f16 v23, v132, 2.0, -v2
	ds_write_b16 v72, v23
	ds_write_b16 v72, v2 offset:480
	v_sub_f16_e32 v2, v133, v114
	v_add_co_u32_e64 v8, s[0:1], s12, v8
	v_fma_f16 v23, v133, 2.0, -v2
	v_addc_co_u32_e64 v9, s[0:1], v55, v9, s[0:1]
	ds_write_b16 v80, v23 offset:6720
	ds_write_b16 v80, v2 offset:7200
	v_add_u32_e32 v2, 0xffffffa0, v0
	v_cmp_gt_u32_e64 s[0:1], s6, v34
	s_waitcnt lgkmcnt(0)
	s_barrier
	global_load_dword v23, v[6:7], off offset:1880
	global_load_dword v62, v[8:9], off offset:1880
	v_cndmask_b32_e64 v2, v2, v34, s[0:1]
	v_lshlrev_b64 v[60:61], 2, v[2:3]
	global_load_dword v29, v[4:5], off offset:1880
	v_add_co_u32_e64 v60, s[0:1], s12, v60
	v_addc_co_u32_e64 v61, s[0:1], v55, v61, s[0:1]
	global_load_dword v63, v[60:61], off offset:1880
	global_load_dword v64, v[6:7], off offset:2008
	;; [unrolled: 1-line block ×4, first 2 shown]
	v_mul_lo_u16_sdwa v60, v10, s6 dst_sel:DWORD dst_unused:UNUSED_PAD src0_sel:BYTE_3 src1_sel:DWORD
	v_sub_u16_e32 v60, v18, v60
	v_lshlrev_b32_e32 v61, 2, v60
	global_load_dword v61, v61, s[12:13] offset:1880
	v_lshlrev_b32_e32 v67, 2, v12
	global_load_dword v67, v67, s[12:13] offset:1880
	;; [unrolled: 2-line block ×3, first 2 shown]
	v_sub_u16_e32 v57, v24, v57
	v_mul_lo_u16_sdwa v70, v11, s6 dst_sel:DWORD dst_unused:UNUSED_PAD src0_sel:BYTE_3 src1_sel:DWORD
	v_lshlrev_b32_e32 v69, 2, v57
	global_load_dword v69, v69, s[12:13] offset:1880
	v_sub_u16_e32 v70, v30, v70
	v_mul_lo_u16_sdwa v58, v58, s6 dst_sel:DWORD dst_unused:UNUSED_PAD src0_sel:BYTE_3 src1_sel:DWORD
	v_lshlrev_b32_e32 v71, 2, v70
	global_load_dword v71, v71, s[12:13] offset:1880
	;; [unrolled: 4-line block ×4, first 2 shown]
	v_sub_u16_e32 v13, v31, v13
	v_lshlrev_b32_e32 v74, 2, v13
	global_load_dword v74, v74, s[12:13] offset:1880
	ds_read_u16 v75, v42 offset:3840
	ds_read_u16 v76, v42 offset:4096
	;; [unrolled: 1-line block ×7, first 2 shown]
	ds_read_u16 v109, v42
	s_movk_i32 s0, 0x1df
	v_cmp_lt_u32_e64 s[0:1], s0, v34
	v_lshlrev_b32_e32 v2, 1, v2
	v_lshlrev_b32_e32 v60, 1, v60
	v_lshl_add_u32 v12, v12, 1, 0
	v_lshl_add_u32 v56, v56, 1, 0
	;; [unrolled: 1-line block ×6, first 2 shown]
	v_lshlrev_b64 v[32:33], 2, v[32:33]
	s_movk_i32 s6, 0x1000
	s_waitcnt vmcnt(14) lgkmcnt(7)
	v_mul_f16_sdwa v111, v75, v23 dst_sel:DWORD dst_unused:UNUSED_PAD src0_sel:DWORD src1_sel:WORD_1
	v_fma_f16 v111, v82, v23, -v111
	v_mul_f16_sdwa v82, v82, v23 dst_sel:DWORD dst_unused:UNUSED_PAD src0_sel:DWORD src1_sel:WORD_1
	v_fma_f16 v23, v75, v23, v82
	s_waitcnt vmcnt(12) lgkmcnt(6)
	v_mul_f16_sdwa v75, v76, v29 dst_sel:DWORD dst_unused:UNUSED_PAD src0_sel:DWORD src1_sel:WORD_1
	v_mul_f16_sdwa v82, v83, v29 dst_sel:DWORD dst_unused:UNUSED_PAD src0_sel:DWORD src1_sel:WORD_1
	v_fma_f16 v75, v83, v29, -v75
	v_fma_f16 v29, v76, v29, v82
	s_waitcnt lgkmcnt(5)
	v_mul_f16_sdwa v76, v77, v62 dst_sel:DWORD dst_unused:UNUSED_PAD src0_sel:DWORD src1_sel:WORD_1
	v_mul_f16_sdwa v82, v84, v62 dst_sel:DWORD dst_unused:UNUSED_PAD src0_sel:DWORD src1_sel:WORD_1
	v_fma_f16 v76, v84, v62, -v76
	v_fma_f16 v62, v77, v62, v82
	s_waitcnt vmcnt(11) lgkmcnt(4)
	v_mul_f16_sdwa v77, v78, v63 dst_sel:DWORD dst_unused:UNUSED_PAD src0_sel:DWORD src1_sel:WORD_1
	v_mul_f16_sdwa v82, v85, v63 dst_sel:DWORD dst_unused:UNUSED_PAD src0_sel:DWORD src1_sel:WORD_1
	v_fma_f16 v77, v85, v63, -v77
	v_fma_f16 v63, v78, v63, v82
	s_waitcnt vmcnt(10) lgkmcnt(3)
	;; [unrolled: 5-line block ×4, first 2 shown]
	v_mul_f16_sdwa v82, v107, v66 dst_sel:DWORD dst_unused:UNUSED_PAD src0_sel:DWORD src1_sel:WORD_1
	v_mul_f16_sdwa v83, v89, v66 dst_sel:DWORD dst_unused:UNUSED_PAD src0_sel:DWORD src1_sel:WORD_1
	v_fma_f16 v82, v89, v66, -v82
	v_fma_f16 v66, v107, v66, v83
	ds_read_u16 v83, v42 offset:5632
	ds_read_u16 v84, v42 offset:5888
	;; [unrolled: 1-line block ×8, first 2 shown]
	s_waitcnt vmcnt(7) lgkmcnt(7)
	v_mul_f16_sdwa v114, v83, v61 dst_sel:DWORD dst_unused:UNUSED_PAD src0_sel:DWORD src1_sel:WORD_1
	v_fma_f16 v114, v103, v61, -v114
	v_mul_f16_sdwa v103, v103, v61 dst_sel:DWORD dst_unused:UNUSED_PAD src0_sel:DWORD src1_sel:WORD_1
	v_fma_f16 v61, v83, v61, v103
	s_waitcnt vmcnt(6) lgkmcnt(6)
	v_mul_f16_sdwa v83, v84, v67 dst_sel:DWORD dst_unused:UNUSED_PAD src0_sel:DWORD src1_sel:WORD_1
	v_mul_f16_sdwa v103, v104, v67 dst_sel:DWORD dst_unused:UNUSED_PAD src0_sel:DWORD src1_sel:WORD_1
	v_fma_f16 v83, v104, v67, -v83
	v_fma_f16 v67, v84, v67, v103
	s_waitcnt vmcnt(5) lgkmcnt(5)
	v_mul_f16_sdwa v84, v85, v68 dst_sel:DWORD dst_unused:UNUSED_PAD src0_sel:DWORD src1_sel:WORD_1
	v_mul_f16_sdwa v103, v105, v68 dst_sel:DWORD dst_unused:UNUSED_PAD src0_sel:DWORD src1_sel:WORD_1
	v_fma_f16 v84, v105, v68, -v84
	;; [unrolled: 5-line block ×7, first 2 shown]
	v_fma_f16 v74, v107, v74, v103
	v_sub_f16_e32 v103, v81, v111
	v_fma_f16 v81, v81, 2.0, -v103
	v_sub_f16_e32 v75, v101, v75
	ds_read_u16 v104, v26
	ds_read_u16 v105, v21
	;; [unrolled: 1-line block ×14, first 2 shown]
	s_waitcnt lgkmcnt(0)
	s_barrier
	ds_write_b16 v42, v81
	ds_write_b16 v42, v103 offset:960
	v_fma_f16 v81, v101, 2.0, -v75
	ds_write_b16 v26, v81
	ds_write_b16 v26, v75 offset:960
	v_sub_f16_e32 v75, v100, v76
	v_fma_f16 v76, v100, 2.0, -v75
	ds_write_b16 v21, v76
	ds_write_b16 v21, v75 offset:960
	v_mov_b32_e32 v75, 0x780
	v_cndmask_b32_e64 v75, 0, v75, s[0:1]
	v_add3_u32 v2, 0, v75, v2
	v_sub_f16_e32 v75, v95, v77
	v_fma_f16 v76, v95, 2.0, -v75
	ds_write_b16 v2, v76
	ds_write_b16 v2, v75 offset:960
	v_sub_f16_e32 v75, v94, v78
	v_fma_f16 v76, v94, 2.0, -v75
	ds_write_b16 v1, v76 offset:1984
	ds_write_b16 v1, v75 offset:2944
	v_sub_f16_e32 v75, v79, v80
	v_fma_f16 v76, v79, 2.0, -v75
	s_movk_i32 s0, 0x780
	ds_write_b16 v1, v76 offset:2240
	ds_write_b16 v1, v75 offset:3200
	v_sub_f16_e32 v75, v90, v82
	v_mul_u32_u24_sdwa v10, v10, s0 dst_sel:DWORD dst_unused:UNUSED_PAD src0_sel:BYTE_3 src1_sel:DWORD
	v_fma_f16 v76, v90, 2.0, -v75
	v_add3_u32 v60, 0, v10, v60
	v_sub_f16_e32 v10, v91, v114
	ds_write_b16 v1, v76 offset:2496
	ds_write_b16 v1, v75 offset:3456
	v_fma_f16 v75, v91, 2.0, -v10
	ds_write_b16 v60, v75
	ds_write_b16 v60, v10 offset:960
	v_sub_f16_e32 v10, v92, v83
	v_fma_f16 v75, v92, 2.0, -v10
	ds_write_b16 v12, v75 offset:3840
	ds_write_b16 v12, v10 offset:4800
	v_sub_f16_e32 v10, v93, v84
	v_fma_f16 v75, v93, 2.0, -v10
	ds_write_b16 v56, v75 offset:3840
	;; [unrolled: 4-line block ×3, first 2 shown]
	ds_write_b16 v57, v10 offset:4800
	v_mul_u32_u24_sdwa v10, v11, s0 dst_sel:DWORD dst_unused:UNUSED_PAD src0_sel:BYTE_3 src1_sel:DWORD
	v_lshlrev_b32_e32 v11, 1, v70
	v_add3_u32 v70, 0, v10, v11
	v_sub_f16_e32 v10, v97, v86
	v_fma_f16 v11, v97, 2.0, -v10
	ds_write_b16 v70, v11
	ds_write_b16 v70, v10 offset:960
	v_sub_f16_e32 v10, v98, v87
	v_fma_f16 v11, v98, 2.0, -v10
	ds_write_b16 v58, v11 offset:5760
	ds_write_b16 v58, v10 offset:6720
	v_sub_f16_e32 v10, v99, v88
	v_fma_f16 v11, v99, 2.0, -v10
	ds_write_b16 v59, v11 offset:5760
	;; [unrolled: 4-line block ×3, first 2 shown]
	ds_write_b16 v13, v10 offset:6720
	v_sub_f16_e32 v10, v109, v23
	v_fma_f16 v11, v109, 2.0, -v10
	s_waitcnt lgkmcnt(0)
	s_barrier
	ds_read_u16 v23, v43
	ds_read_u16 v75, v42
	ds_read_u16 v76, v42 offset:3840
	ds_read_u16 v77, v42 offset:4096
	;; [unrolled: 1-line block ×7, first 2 shown]
	ds_read_u16 v83, v47
	ds_read_u16 v84, v48
	ds_read_u16 v85, v49
	ds_read_u16 v86, v50
	ds_read_u16 v87, v45
	ds_read_u16 v88, v44
	ds_read_u16 v89, v46
	ds_read_u16 v90, v51
	ds_read_u16 v91, v52
	ds_read_u16 v92, v53
	ds_read_u16 v93, v21
	ds_read_u16 v94, v26
	ds_read_u16 v95, v54
	ds_read_u16 v96, v42 offset:5632
	ds_read_u16 v97, v42 offset:5888
	;; [unrolled: 1-line block ×8, first 2 shown]
	s_waitcnt lgkmcnt(0)
	s_barrier
	ds_write_b16 v42, v11
	ds_write_b16 v42, v10 offset:960
	v_sub_f16_e32 v10, v104, v29
	v_fma_f16 v11, v104, 2.0, -v10
	ds_write_b16 v26, v11
	ds_write_b16 v26, v10 offset:960
	v_sub_f16_e32 v10, v105, v62
	v_fma_f16 v11, v105, 2.0, -v10
	;; [unrolled: 4-line block ×4, first 2 shown]
	ds_write_b16 v1, v29 offset:1984
	ds_write_b16 v1, v2 offset:2944
	v_sub_f16_e32 v2, v106, v65
	v_fma_f16 v29, v106, 2.0, -v2
	ds_write_b16 v1, v29 offset:2240
	ds_write_b16 v1, v2 offset:3200
	v_sub_f16_e32 v2, v107, v66
	v_fma_f16 v29, v107, 2.0, -v2
	;; [unrolled: 4-line block ×3, first 2 shown]
	ds_write_b16 v60, v29
	ds_write_b16 v60, v2 offset:960
	v_sub_f16_e32 v2, v110, v67
	v_fma_f16 v29, v110, 2.0, -v2
	ds_write_b16 v12, v29 offset:3840
	ds_write_b16 v12, v2 offset:4800
	v_sub_f16_e32 v2, v111, v68
	v_fma_f16 v12, v111, 2.0, -v2
	ds_write_b16 v56, v12 offset:3840
	;; [unrolled: 4-line block ×3, first 2 shown]
	ds_write_b16 v57, v2 offset:4800
	v_sub_f16_e32 v2, v116, v71
	v_fma_f16 v12, v116, 2.0, -v2
	ds_write_b16 v70, v12
	ds_write_b16 v70, v2 offset:960
	v_sub_f16_e32 v2, v117, v72
	v_fma_f16 v12, v117, 2.0, -v2
	ds_write_b16 v58, v12 offset:5760
	ds_write_b16 v58, v2 offset:6720
	v_sub_f16_e32 v2, v118, v73
	v_fma_f16 v12, v118, 2.0, -v2
	v_lshlrev_b64 v[10:11], 2, v[34:35]
	ds_write_b16 v59, v12 offset:5760
	ds_write_b16 v59, v2 offset:6720
	v_sub_f16_e32 v2, v119, v74
	v_fma_f16 v12, v119, 2.0, -v2
	ds_write_b16 v13, v12 offset:5760
	ds_write_b16 v13, v2 offset:6720
	v_add_co_u32_e64 v10, s[0:1], s12, v10
	v_lshlrev_b64 v[12:13], 2, v[36:37]
	v_addc_co_u32_e64 v11, s[0:1], v55, v11, s[0:1]
	v_add_co_u32_e64 v12, s[0:1], s12, v12
	v_lshlrev_b64 v[34:35], 2, v[38:39]
	v_addc_co_u32_e64 v13, s[0:1], v55, v13, s[0:1]
	v_add_co_u32_e64 v34, s[0:1], s12, v34
	v_addc_co_u32_e64 v35, s[0:1], v55, v35, s[0:1]
	v_add_co_u32_e64 v36, s[0:1], s12, v32
	s_waitcnt lgkmcnt(0)
	s_barrier
	global_load_dword v29, v[6:7], off offset:3800
	global_load_dword v57, v[8:9], off offset:3800
	v_addc_co_u32_e64 v37, s[0:1], v55, v33, s[0:1]
	global_load_dword v56, v[4:5], off offset:3800
	s_movk_i32 s0, 0x3c0
	v_add_u32_e32 v2, 0xfffffc40, v18
	v_cmp_gt_u32_e64 s[0:1], s0, v18
	v_cndmask_b32_e64 v2, v2, v18, s[0:1]
	global_load_dword v38, v[10:11], off offset:3800
	global_load_dword v39, v[12:13], off offset:3800
	v_lshlrev_b64 v[32:33], 2, v[2:3]
	global_load_dword v58, v[34:35], off offset:3800
	global_load_dword v59, v[36:37], off offset:3800
	v_add_co_u32_e64 v32, s[0:1], s12, v32
	v_addc_co_u32_e64 v33, s[0:1], v55, v33, s[0:1]
	global_load_dword v55, v[32:33], off offset:3800
	global_load_dword v60, v[6:7], off offset:4056
	v_add_co_u32_e64 v6, s[0:1], s6, v6
	v_addc_co_u32_e64 v7, s[0:1], 0, v7, s[0:1]
	global_load_dword v32, v[6:7], off offset:472
	global_load_dword v33, v[6:7], off offset:984
	;; [unrolled: 1-line block ×6, first 2 shown]
	ds_read_u16 v65, v42 offset:3840
	ds_read_u16 v66, v42 offset:4096
	;; [unrolled: 1-line block ×7, first 2 shown]
	ds_read_u16 v72, v42
	s_movk_i32 s0, 0x3bf
	v_cmp_lt_u32_e64 s[0:1], s0, v18
	v_lshlrev_b32_e32 v2, 1, v2
	s_waitcnt vmcnt(14) lgkmcnt(7)
	v_mul_f16_sdwa v73, v65, v29 dst_sel:DWORD dst_unused:UNUSED_PAD src0_sel:DWORD src1_sel:WORD_1
	v_mul_f16_sdwa v74, v76, v29 dst_sel:DWORD dst_unused:UNUSED_PAD src0_sel:DWORD src1_sel:WORD_1
	v_fma_f16 v73, v76, v29, -v73
	v_fma_f16 v29, v65, v29, v74
	s_waitcnt vmcnt(12) lgkmcnt(6)
	v_mul_f16_sdwa v65, v66, v56 dst_sel:DWORD dst_unused:UNUSED_PAD src0_sel:DWORD src1_sel:WORD_1
	v_mul_f16_sdwa v74, v77, v56 dst_sel:DWORD dst_unused:UNUSED_PAD src0_sel:DWORD src1_sel:WORD_1
	v_fma_f16 v65, v77, v56, -v65
	v_fma_f16 v104, v66, v56, v74
	s_waitcnt lgkmcnt(5)
	v_mul_f16_sdwa v56, v67, v57 dst_sel:DWORD dst_unused:UNUSED_PAD src0_sel:DWORD src1_sel:WORD_1
	v_mul_f16_sdwa v66, v78, v57 dst_sel:DWORD dst_unused:UNUSED_PAD src0_sel:DWORD src1_sel:WORD_1
	v_fma_f16 v56, v78, v57, -v56
	v_fma_f16 v105, v67, v57, v66
	s_waitcnt vmcnt(11) lgkmcnt(4)
	v_mul_f16_sdwa v57, v68, v38 dst_sel:DWORD dst_unused:UNUSED_PAD src0_sel:DWORD src1_sel:WORD_1
	v_mul_f16_sdwa v66, v79, v38 dst_sel:DWORD dst_unused:UNUSED_PAD src0_sel:DWORD src1_sel:WORD_1
	v_fma_f16 v57, v79, v38, -v57
	v_fma_f16 v79, v68, v38, v66
	s_waitcnt vmcnt(10) lgkmcnt(3)
	;; [unrolled: 5-line block ×4, first 2 shown]
	v_mul_f16_sdwa v58, v71, v59 dst_sel:DWORD dst_unused:UNUSED_PAD src0_sel:DWORD src1_sel:WORD_1
	v_mul_f16_sdwa v66, v82, v59 dst_sel:DWORD dst_unused:UNUSED_PAD src0_sel:DWORD src1_sel:WORD_1
	v_fma_f16 v58, v82, v59, -v58
	v_fma_f16 v82, v71, v59, v66
	ds_read_u16 v59, v42 offset:5632
	ds_read_u16 v66, v42 offset:5888
	;; [unrolled: 1-line block ×8, first 2 shown]
	s_waitcnt vmcnt(7) lgkmcnt(7)
	v_mul_f16_sdwa v76, v59, v55 dst_sel:DWORD dst_unused:UNUSED_PAD src0_sel:DWORD src1_sel:WORD_1
	v_mul_f16_sdwa v77, v96, v55 dst_sel:DWORD dst_unused:UNUSED_PAD src0_sel:DWORD src1_sel:WORD_1
	v_fma_f16 v76, v96, v55, -v76
	v_fma_f16 v96, v59, v55, v77
	s_waitcnt vmcnt(6) lgkmcnt(6)
	v_mul_f16_sdwa v55, v66, v60 dst_sel:DWORD dst_unused:UNUSED_PAD src0_sel:DWORD src1_sel:WORD_1
	v_mul_f16_sdwa v59, v97, v60 dst_sel:DWORD dst_unused:UNUSED_PAD src0_sel:DWORD src1_sel:WORD_1
	v_fma_f16 v55, v97, v60, -v55
	v_fma_f16 v97, v66, v60, v59
	;; [unrolled: 5-line block ×8, first 2 shown]
	v_sub_f16_e32 v64, v75, v73
	v_fma_f16 v66, v75, 2.0, -v64
	ds_read_u16 v103, v26
	ds_read_u16 v106, v21
	;; [unrolled: 1-line block ×14, first 2 shown]
	s_waitcnt lgkmcnt(0)
	s_barrier
	ds_write_b16 v42, v66
	ds_write_b16 v42, v64 offset:1920
	v_sub_f16_e32 v64, v94, v65
	v_fma_f16 v65, v94, 2.0, -v64
	v_sub_f16_e32 v56, v93, v56
	ds_write_b16 v26, v65
	ds_write_b16 v26, v64 offset:1920
	v_fma_f16 v64, v93, 2.0, -v56
	ds_write_b16 v21, v64
	ds_write_b16 v21, v56 offset:1920
	v_sub_f16_e32 v56, v88, v57
	v_fma_f16 v57, v88, 2.0, -v56
	v_sub_f16_e32 v38, v87, v38
	ds_write_b16 v44, v57
	ds_write_b16 v44, v56 offset:1920
	v_fma_f16 v56, v87, 2.0, -v38
	ds_write_b16 v45, v56
	ds_write_b16 v45, v38 offset:1920
	v_sub_f16_e32 v38, v23, v39
	v_fma_f16 v23, v23, 2.0, -v38
	ds_write_b16 v43, v23
	ds_write_b16 v43, v38 offset:1920
	v_sub_f16_e32 v23, v83, v58
	v_fma_f16 v38, v83, 2.0, -v23
	ds_write_b16 v47, v38
	ds_write_b16 v47, v23 offset:1920
	v_mov_b32_e32 v23, 0xf00
	v_cndmask_b32_e64 v23, 0, v23, s[0:1]
	v_add3_u32 v83, 0, v23, v2
	v_sub_f16_e32 v2, v84, v76
	v_fma_f16 v23, v84, 2.0, -v2
	ds_write_b16 v83, v23
	ds_write_b16 v83, v2 offset:1920
	v_sub_f16_e32 v2, v85, v55
	v_fma_f16 v23, v85, 2.0, -v2
	ds_write_b16 v1, v23 offset:3968
	ds_write_b16 v1, v2 offset:5888
	v_sub_f16_e32 v2, v86, v59
	v_fma_f16 v23, v86, 2.0, -v2
	ds_write_b16 v1, v23 offset:4224
	;; [unrolled: 4-line block ×6, first 2 shown]
	ds_write_b16 v1, v2 offset:7168
	v_sub_f16_e32 v2, v95, v63
	v_fma_f16 v23, v95, 2.0, -v2
	v_sub_f16_e32 v84, v72, v29
	ds_write_b16 v1, v23 offset:5504
	ds_write_b16 v1, v2 offset:7424
	v_fma_f16 v85, v72, 2.0, -v84
	s_waitcnt lgkmcnt(0)
	s_barrier
	ds_read_u16 v60, v43
	ds_read_u16 v33, v42
	ds_read_u16 v29, v42 offset:3840
	ds_read_u16 v38, v42 offset:4096
	;; [unrolled: 1-line block ×7, first 2 shown]
	ds_read_u16 v64, v47
	ds_read_u16 v65, v48
	;; [unrolled: 1-line block ×13, first 2 shown]
	ds_read_u16 v67, v42 offset:5632
	ds_read_u16 v69, v42 offset:5888
	;; [unrolled: 1-line block ×8, first 2 shown]
	s_waitcnt lgkmcnt(0)
	s_barrier
	ds_write_b16 v42, v85
	ds_write_b16 v42, v84 offset:1920
	v_sub_f16_e32 v84, v103, v104
	v_fma_f16 v85, v103, 2.0, -v84
	ds_write_b16 v26, v85
	ds_write_b16 v26, v84 offset:1920
	v_sub_f16_e32 v26, v106, v105
	v_fma_f16 v84, v106, 2.0, -v26
	;; [unrolled: 4-line block ×8, first 2 shown]
	ds_write_b16 v1, v26 offset:3968
	ds_write_b16 v1, v21 offset:5888
	v_sub_f16_e32 v21, v111, v32
	v_fma_f16 v26, v111, 2.0, -v21
	ds_write_b16 v1, v26 offset:4224
	ds_write_b16 v1, v21 offset:6144
	v_sub_f16_e32 v21, v114, v98
	v_fma_f16 v26, v114, 2.0, -v21
	ds_write_b16 v1, v26 offset:4480
	ds_write_b16 v1, v21 offset:6400
	v_sub_f16_e32 v21, v115, v99
	v_fma_f16 v26, v115, 2.0, -v21
	ds_write_b16 v1, v26 offset:4736
	ds_write_b16 v1, v21 offset:6656
	v_sub_f16_e32 v21, v116, v100
	v_fma_f16 v26, v116, 2.0, -v21
	ds_write_b16 v1, v26 offset:4992
	ds_write_b16 v1, v21 offset:6912
	v_sub_f16_e32 v21, v117, v101
	v_fma_f16 v26, v117, 2.0, -v21
	ds_write_b16 v1, v26 offset:5248
	ds_write_b16 v1, v21 offset:7168
	v_sub_f16_e32 v21, v118, v102
	v_fma_f16 v26, v118, 2.0, -v21
	s_movk_i32 s0, 0xf00
	ds_write_b16 v1, v26 offset:5504
	ds_write_b16 v1, v21 offset:7424
	s_waitcnt lgkmcnt(0)
	s_barrier
	s_and_saveexec_b64 s[8:9], vcc
	s_cbranch_execz .LBB0_15
; %bb.14:
	v_mov_b32_e32 v32, v3
	v_lshlrev_b64 v[31:32], 2, v[31:32]
	v_mov_b32_e32 v81, s13
	v_add_co_u32_e32 v1, vcc, s12, v31
	v_addc_co_u32_e32 v21, vcc, v81, v32, vcc
	v_mov_b32_e32 v26, v3
	v_add_co_u32_e32 v31, vcc, s6, v1
	v_lshlrev_b64 v[25:26], 2, v[25:26]
	v_addc_co_u32_e32 v32, vcc, 0, v21, vcc
	global_load_dword v32, v[31:32], off offset:3544
	v_add_co_u32_e32 v1, vcc, s12, v25
	v_addc_co_u32_e32 v21, vcc, v81, v26, vcc
	v_add_co_u32_e32 v25, vcc, s6, v1
	v_addc_co_u32_e32 v26, vcc, 0, v21, vcc
	global_load_dword v26, v[25:26], off offset:3544
	v_mov_b32_e32 v21, v3
	v_lshlrev_b64 v[20:21], 2, v[20:21]
	v_mul_lo_u32 v17, s4, v17
	v_add_co_u32_e32 v1, vcc, s12, v20
	v_addc_co_u32_e32 v21, vcc, v81, v21, vcc
	v_add_co_u32_e32 v20, vcc, s6, v1
	v_addc_co_u32_e32 v21, vcc, 0, v21, vcc
	global_load_dword v82, v[20:21], off offset:3544
	v_mul_lo_u32 v1, s5, v16
	v_mad_u64_u32 v[79:80], s[4:5], s4, v16, 0
	v_mov_b32_e32 v31, v3
	v_mov_b32_e32 v25, v3
	v_add3_u32 v80, v80, v17, v1
	v_lshlrev_b64 v[16:17], 2, v[30:31]
	v_mul_i32_i24_e32 v84, 0xffffffee, v28
	v_add_co_u32_e32 v1, vcc, s12, v16
	v_addc_co_u32_e32 v17, vcc, v81, v17, vcc
	v_add_co_u32_e32 v16, vcc, s6, v1
	v_addc_co_u32_e32 v17, vcc, 0, v17, vcc
	global_load_dword v30, v[16:17], off offset:3544
	v_lshlrev_b64 v[16:17], 2, v[24:25]
	v_mov_b32_e32 v20, v3
	v_add_co_u32_e32 v1, vcc, s12, v16
	v_addc_co_u32_e32 v17, vcc, v81, v17, vcc
	v_add_co_u32_e32 v16, vcc, s6, v1
	v_addc_co_u32_e32 v17, vcc, 0, v17, vcc
	global_load_dword v31, v[16:17], off offset:3544
	v_lshlrev_b64 v[16:17], 2, v[19:20]
	v_mov_b32_e32 v28, v3
	v_add_co_u32_e32 v1, vcc, s12, v16
	v_addc_co_u32_e32 v17, vcc, v81, v17, vcc
	v_add_co_u32_e32 v16, vcc, s6, v1
	v_lshlrev_b64 v[19:20], 2, v[27:28]
	ds_read_u16 v21, v42 offset:7424
	v_addc_co_u32_e32 v17, vcc, 0, v17, vcc
	v_add_co_u32_e32 v1, vcc, s12, v19
	v_addc_co_u32_e32 v20, vcc, v81, v20, vcc
	v_add_co_u32_e32 v19, vcc, s6, v1
	v_addc_co_u32_e32 v20, vcc, 0, v20, vcc
	global_load_dword v28, v[16:17], off offset:3544
	global_load_dword v85, v[19:20], off offset:3544
	;; [unrolled: 1-line block ×3, first 2 shown]
	ds_read_u16 v16, v54
	ds_read_u16 v19, v53
	ds_read_u16 v17, v42 offset:7168
	v_mul_i32_i24_e32 v83, 0xffffffee, v22
	v_add_u32_e32 v41, v41, v84
	v_add_u32_e32 v40, v40, v83
	s_mov_b32 s1, 0x88888889
	ds_read_u16 v27, v42 offset:6656
	s_waitcnt vmcnt(7)
	v_lshrrev_b32_e32 v7, 16, v32
	s_waitcnt lgkmcnt(4)
	v_mul_f16_e32 v1, v7, v21
	v_fma_f16 v1, v78, v32, -v1
	v_sub_f16_e32 v1, v2, v1
	v_fma_f16 v6, v2, 2.0, -v1
	v_mul_f16_e32 v2, v32, v21
	v_fma_f16 v2, v78, v7, v2
	s_waitcnt lgkmcnt(3)
	v_sub_f16_e32 v2, v16, v2
	ds_read_u16 v32, v51
	s_waitcnt vmcnt(6)
	v_lshrrev_b32_e32 v21, 16, v26
	ds_read_u16 v25, v42 offset:6912
	v_fma_f16 v7, v16, 2.0, -v2
	s_waitcnt lgkmcnt(3)
	v_mul_f16_e32 v16, v21, v17
	v_mul_f16_e32 v17, v26, v17
	v_fma_f16 v17, v77, v21, v17
	v_sub_f16_e32 v17, v19, v17
	v_fma_f16 v21, v19, 2.0, -v17
	v_fma_f16 v16, v77, v26, -v16
	ds_read_u16 v26, v52
	ds_read_u16 v52, v42 offset:6400
	v_sub_f16_e32 v16, v76, v16
	s_waitcnt vmcnt(5)
	v_lshrrev_b32_e32 v19, 16, v82
	s_waitcnt lgkmcnt(2)
	v_mul_f16_e32 v22, v19, v25
	v_fma_f16 v22, v75, v82, -v22
	v_sub_f16_e32 v22, v23, v22
	v_fma_f16 v24, v23, 2.0, -v22
	v_mul_f16_e32 v23, v82, v25
	v_fma_f16 v19, v75, v19, v23
	s_waitcnt lgkmcnt(1)
	v_sub_f16_e32 v23, v26, v19
	v_mov_b32_e32 v19, v3
	v_lshlrev_b64 v[18:19], 2, v[18:19]
	v_fma_f16 v20, v76, 2.0, -v16
	v_add_co_u32_e32 v3, vcc, s12, v18
	v_addc_co_u32_e32 v19, vcc, v81, v19, vcc
	v_add_co_u32_e32 v18, vcc, s6, v3
	v_addc_co_u32_e32 v19, vcc, 0, v19, vcc
	global_load_dword v51, v[18:19], off offset:3544
	v_fma_f16 v3, v26, 2.0, -v23
	s_waitcnt vmcnt(5)
	v_lshrrev_b32_e32 v26, 16, v30
	v_mul_f16_e32 v18, v26, v27
	v_fma_f16 v25, v74, v30, -v18
	v_add_co_u32_e32 v18, vcc, s6, v36
	v_addc_co_u32_e32 v19, vcc, 0, v37, vcc
	global_load_dword v36, v[18:19], off offset:3544
	v_mul_f16_e32 v19, v30, v27
	v_fma_f16 v19, v74, v26, v19
	v_add_co_u32_e32 v26, vcc, s6, v34
	v_addc_co_u32_e32 v27, vcc, 0, v35, vcc
	global_load_dword v27, v[26:27], off offset:3544
	v_add_co_u32_e32 v12, vcc, s6, v12
	v_addc_co_u32_e32 v13, vcc, 0, v13, vcc
	global_load_dword v35, v[12:13], off offset:3544
	v_sub_f16_e32 v19, v32, v19
	s_waitcnt vmcnt(7)
	v_lshrrev_b32_e32 v30, 16, v31
	v_fma_f16 v26, v32, 2.0, -v19
	ds_read_u16 v32, v42 offset:6144
	s_waitcnt lgkmcnt(1)
	v_mul_f16_e32 v34, v30, v52
	v_add_co_u32_e32 v10, vcc, s6, v10
	v_fma_f16 v34, v72, v31, -v34
	v_mul_f16_e32 v31, v31, v52
	v_addc_co_u32_e32 v11, vcc, 0, v11, vcc
	v_fma_f16 v30, v72, v30, v31
	global_load_dword v31, v[10:11], off offset:3544
	v_add_co_u32_e32 v8, vcc, s6, v8
	v_addc_co_u32_e32 v9, vcc, 0, v9, vcc
	global_load_dword v37, v[8:9], off offset:3544
	v_add_co_u32_e32 v4, vcc, s6, v4
	v_addc_co_u32_e32 v5, vcc, 0, v5, vcc
	v_sub_f16_e32 v12, v71, v34
	ds_read_u16 v34, v46
	ds_read_u16 v46, v50
	;; [unrolled: 1-line block ×8, first 2 shown]
	global_load_dword v4, v[4:5], off offset:3544
	s_waitcnt vmcnt(9)
	v_lshrrev_b32_e32 v11, 16, v28
	s_waitcnt lgkmcnt(8)
	v_mul_f16_e32 v10, v11, v32
	s_waitcnt lgkmcnt(7)
	v_sub_f16_e32 v8, v34, v30
	ds_read_u16 v30, v42 offset:5888
	v_fma_f16 v5, v70, v28, -v10
	v_sub_f16_e32 v10, v68, v5
	v_mul_f16_e32 v5, v28, v32
	ds_read_u16 v28, v42 offset:5632
	v_fma_f16 v5, v70, v11, v5
	s_waitcnt lgkmcnt(8)
	v_sub_f16_e32 v11, v46, v5
	s_waitcnt vmcnt(8)
	v_lshrrev_b32_e32 v5, 16, v85
	v_fma_f16 v32, v46, 2.0, -v11
	s_waitcnt lgkmcnt(1)
	v_mul_f16_e32 v46, v5, v30
	v_mul_f16_e32 v30, v85, v30
	v_fma_f16 v5, v69, v5, v30
	v_sub_f16_e32 v52, v49, v5
	v_fma_f16 v46, v69, v85, -v46
	v_sub_f16_e32 v46, v66, v46
	v_fma_f16 v50, v66, 2.0, -v46
	ds_read_u16 v41, v41
	v_fma_f16 v9, v34, 2.0, -v8
	v_fma_f16 v34, v68, 2.0, -v10
	;; [unrolled: 1-line block ×3, first 2 shown]
	v_pack_b32_f16 v10, v10, v11
	v_fma_f16 v13, v71, 2.0, -v12
	v_pack_b32_f16 v13, v13, v9
	v_pack_b32_f16 v8, v12, v8
	v_sub_f16_e32 v18, v73, v25
	v_fma_f16 v25, v73, 2.0, -v18
	s_waitcnt vmcnt(6)
	v_lshrrev_b32_e32 v5, 16, v51
	s_waitcnt lgkmcnt(1)
	v_mul_f16_e32 v30, v5, v28
	v_mul_f16_e32 v28, v51, v28
	v_fma_f16 v5, v67, v5, v28
	ds_read_u16 v28, v42 offset:5376
	v_fma_f16 v30, v67, v51, -v30
	v_sub_f16_e32 v53, v65, v30
	ds_read_u16 v30, v42 offset:5120
	v_sub_f16_e32 v51, v48, v5
	s_waitcnt vmcnt(5)
	v_lshrrev_b32_e32 v5, 16, v36
	v_fma_f16 v54, v65, 2.0, -v53
	s_waitcnt lgkmcnt(1)
	v_mul_f16_e32 v65, v5, v28
	v_mul_f16_e32 v28, v36, v28
	v_fma_f16 v5, v63, v5, v28
	ds_read_u16 v28, v42 offset:4864
	v_fma_f16 v65, v63, v36, -v65
	v_sub_f16_e32 v36, v47, v5
	s_waitcnt vmcnt(4)
	v_lshrrev_b32_e32 v5, 16, v27
	s_waitcnt lgkmcnt(1)
	v_mul_f16_e32 v63, v5, v30
	v_fma_f16 v63, v61, v27, -v63
	v_mul_f16_e32 v27, v27, v30
	v_fma_f16 v5, v61, v5, v27
	ds_read_u16 v27, v42 offset:4608
	v_sub_f16_e32 v61, v43, v5
	s_waitcnt vmcnt(3)
	v_lshrrev_b32_e32 v5, 16, v35
	s_waitcnt lgkmcnt(1)
	v_mul_f16_e32 v30, v5, v28
	v_mul_f16_e32 v28, v35, v28
	v_fma_f16 v5, v57, v5, v28
	ds_read_u16 v28, v42 offset:4352
	v_fma_f16 v30, v57, v35, -v30
	v_sub_f16_e32 v35, v45, v5
	v_sub_f16_e32 v66, v62, v30
	v_lshrrev_b32_e32 v67, 16, v86
	v_fma_f16 v62, v62, 2.0, -v66
	s_waitcnt vmcnt(2)
	v_lshrrev_b32_e32 v5, 16, v31
	s_waitcnt lgkmcnt(1)
	v_mul_f16_e32 v30, v5, v27
	v_mul_f16_e32 v27, v31, v27
	v_fma_f16 v5, v56, v5, v27
	ds_read_u16 v27, v42 offset:4096
	v_fma_f16 v30, v56, v31, -v30
	v_sub_f16_e32 v31, v44, v5
	s_waitcnt vmcnt(1)
	v_lshrrev_b32_e32 v5, 16, v37
	v_sub_f16_e32 v57, v59, v30
	s_waitcnt lgkmcnt(1)
	v_mul_f16_e32 v30, v5, v28
	v_fma_f16 v30, v39, v37, -v30
	v_mul_f16_e32 v28, v37, v28
	v_sub_f16_e32 v56, v58, v30
	ds_read_u16 v30, v42 offset:3840
	v_fma_f16 v5, v39, v5, v28
	ds_read_u16 v42, v42
	ds_read_u16 v40, v40
	v_sub_f16_e32 v37, v41, v5
	s_waitcnt vmcnt(0)
	v_lshrrev_b32_e32 v5, 16, v4
	s_waitcnt lgkmcnt(3)
	v_mul_f16_e32 v28, v5, v27
	v_fma_f16 v28, v38, v4, -v28
	v_mul_f16_e32 v4, v4, v27
	v_fma_f16 v4, v38, v5, v4
	s_waitcnt lgkmcnt(0)
	v_sub_f16_e32 v38, v40, v4
	v_mul_hi_u32 v4, v0, s1
	v_fma_f16 v39, v41, 2.0, -v37
	v_sub_f16_e32 v41, v55, v28
	v_mul_f16_e32 v5, v67, v30
	v_lshrrev_b32_e32 v4, 10, v4
	v_mul_u32_u24_e32 v4, 0x780, v4
	v_sub_u32_e32 v68, v0, v4
	v_mad_u64_u32 v[27:28], s[4:5], s2, v68, 0
	v_fma_f16 v5, v29, v86, -v5
	v_sub_f16_e32 v69, v33, v5
	v_mov_b32_e32 v4, v28
	v_mad_u64_u32 v[4:5], s[4:5], s3, v68, v[4:5]
	v_mul_f16_e32 v30, v86, v30
	v_fma_f16 v5, v29, v67, v30
	v_sub_f16_e32 v67, v42, v5
	v_mov_b32_e32 v28, v4
	v_lshlrev_b64 v[4:5], 2, v[79:80]
	v_fma_f16 v29, v42, 2.0, -v67
	v_mov_b32_e32 v30, s11
	v_add_co_u32_e32 v42, vcc, s10, v4
	v_addc_co_u32_e32 v30, vcc, v30, v5, vcc
	v_lshlrev_b64 v[4:5], 2, v[14:15]
	v_lshlrev_b64 v[14:15], 2, v[27:28]
	v_add_co_u32_e32 v4, vcc, v42, v4
	v_addc_co_u32_e32 v5, vcc, v30, v5, vcc
	v_add_u32_e32 v30, 0x780, v68
	v_mad_u64_u32 v[27:28], s[4:5], s2, v30, 0
	v_add_u32_e32 v42, 0x80, v0
	v_mul_hi_u32 v68, v42, s1
	v_fma_f16 v33, v33, 2.0, -v69
	v_pack_b32_f16 v33, v33, v29
	v_mad_u64_u32 v[28:29], s[4:5], s3, v30, v[28:29]
	v_lshrrev_b32_e32 v29, 10, v68
	v_mul_u32_u24_e32 v30, 0x780, v29
	v_sub_u32_e32 v30, v42, v30
	v_mad_u32_u24 v42, v29, s0, v30
	v_mad_u64_u32 v[29:30], s[4:5], s2, v42, 0
	v_add_co_u32_e32 v14, vcc, v4, v14
	v_addc_co_u32_e32 v15, vcc, v5, v15, vcc
	global_store_dword v[14:15], v33, off
	v_lshlrev_b64 v[14:15], 2, v[27:28]
	v_mov_b32_e32 v27, v30
	v_mad_u64_u32 v[27:28], s[4:5], s3, v42, v[27:28]
	v_add_co_u32_e32 v14, vcc, v4, v14
	v_addc_co_u32_e32 v15, vcc, v5, v15, vcc
	v_pack_b32_f16 v28, v69, v67
	v_mov_b32_e32 v30, v27
	global_store_dword v[14:15], v28, off
	v_lshlrev_b64 v[14:15], 2, v[29:30]
	v_add_u32_e32 v29, 0x780, v42
	v_fma_f16 v55, v55, 2.0, -v41
	v_fma_f16 v40, v40, 2.0, -v38
	v_mad_u64_u32 v[27:28], s[4:5], s2, v29, 0
	v_add_u32_e32 v30, 0x100, v0
	v_pack_b32_f16 v33, v55, v40
	v_mul_hi_u32 v40, v30, s1
	v_mad_u64_u32 v[28:29], s[4:5], s3, v29, v[28:29]
	v_add_co_u32_e32 v14, vcc, v4, v14
	v_lshrrev_b32_e32 v29, 10, v40
	v_mul_u32_u24_e32 v40, 0x780, v29
	v_sub_u32_e32 v30, v30, v40
	v_mad_u32_u24 v40, v29, s0, v30
	v_mad_u64_u32 v[29:30], s[4:5], s2, v40, 0
	v_addc_co_u32_e32 v15, vcc, v5, v15, vcc
	global_store_dword v[14:15], v33, off
	v_lshlrev_b64 v[14:15], 2, v[27:28]
	v_mov_b32_e32 v27, v30
	v_mad_u64_u32 v[27:28], s[4:5], s3, v40, v[27:28]
	v_add_co_u32_e32 v14, vcc, v4, v14
	v_addc_co_u32_e32 v15, vcc, v5, v15, vcc
	v_pack_b32_f16 v28, v41, v38
	v_mov_b32_e32 v30, v27
	global_store_dword v[14:15], v28, off
	v_lshlrev_b64 v[14:15], 2, v[29:30]
	v_add_u32_e32 v29, 0x780, v40
	v_mad_u64_u32 v[27:28], s[4:5], s2, v29, 0
	v_add_u32_e32 v30, 0x180, v0
	v_mul_hi_u32 v38, v30, s1
	v_mad_u64_u32 v[28:29], s[4:5], s3, v29, v[28:29]
	v_fma_f16 v58, v58, 2.0, -v56
	v_lshrrev_b32_e32 v29, 10, v38
	v_mul_u32_u24_e32 v38, 0x780, v29
	v_sub_u32_e32 v30, v30, v38
	v_mad_u32_u24 v38, v29, s0, v30
	v_mad_u64_u32 v[29:30], s[4:5], s2, v38, 0
	v_add_co_u32_e32 v14, vcc, v4, v14
	v_addc_co_u32_e32 v15, vcc, v5, v15, vcc
	v_pack_b32_f16 v33, v58, v39
	global_store_dword v[14:15], v33, off
	v_lshlrev_b64 v[14:15], 2, v[27:28]
	v_mov_b32_e32 v27, v30
	v_mad_u64_u32 v[27:28], s[4:5], s3, v38, v[27:28]
	v_add_co_u32_e32 v14, vcc, v4, v14
	v_addc_co_u32_e32 v15, vcc, v5, v15, vcc
	v_pack_b32_f16 v28, v56, v37
	v_mov_b32_e32 v30, v27
	global_store_dword v[14:15], v28, off
	v_lshlrev_b64 v[14:15], 2, v[29:30]
	v_add_u32_e32 v29, 0x780, v38
	v_mad_u64_u32 v[27:28], s[4:5], s2, v29, 0
	v_add_u32_e32 v30, 0x200, v0
	v_mul_hi_u32 v37, v30, s1
	v_mad_u64_u32 v[28:29], s[4:5], s3, v29, v[28:29]
	v_fma_f16 v59, v59, 2.0, -v57
	v_lshrrev_b32_e32 v29, 10, v37
	v_mul_u32_u24_e32 v37, 0x780, v29
	v_sub_u32_e32 v30, v30, v37
	v_mad_u32_u24 v37, v29, s0, v30
	v_mad_u64_u32 v[29:30], s[4:5], s2, v37, 0
	v_fma_f16 v44, v44, 2.0, -v31
	v_add_co_u32_e32 v14, vcc, v4, v14
	v_addc_co_u32_e32 v15, vcc, v5, v15, vcc
	v_pack_b32_f16 v33, v59, v44
	global_store_dword v[14:15], v33, off
	v_lshlrev_b64 v[14:15], 2, v[27:28]
	v_mov_b32_e32 v27, v30
	v_mad_u64_u32 v[27:28], s[4:5], s3, v37, v[27:28]
	v_add_co_u32_e32 v14, vcc, v4, v14
	v_addc_co_u32_e32 v15, vcc, v5, v15, vcc
	v_pack_b32_f16 v28, v57, v31
	v_mov_b32_e32 v30, v27
	global_store_dword v[14:15], v28, off
	v_lshlrev_b64 v[14:15], 2, v[29:30]
	v_add_u32_e32 v29, 0x780, v37
	v_mad_u64_u32 v[27:28], s[4:5], s2, v29, 0
	v_add_u32_e32 v30, 0x280, v0
	v_mul_hi_u32 v33, v30, s1
	v_mad_u64_u32 v[28:29], s[4:5], s3, v29, v[28:29]
	v_fma_f16 v45, v45, 2.0, -v35
	v_lshrrev_b32_e32 v29, 10, v33
	v_mul_u32_u24_e32 v33, 0x780, v29
	v_sub_u32_e32 v30, v30, v33
	v_mad_u32_u24 v33, v29, s0, v30
	v_mad_u64_u32 v[29:30], s[4:5], s2, v33, 0
	v_add_co_u32_e32 v14, vcc, v4, v14
	v_addc_co_u32_e32 v15, vcc, v5, v15, vcc
	v_pack_b32_f16 v31, v62, v45
	global_store_dword v[14:15], v31, off
	v_lshlrev_b64 v[14:15], 2, v[27:28]
	v_mov_b32_e32 v27, v30
	v_mad_u64_u32 v[27:28], s[4:5], s3, v33, v[27:28]
	v_add_co_u32_e32 v14, vcc, v4, v14
	v_addc_co_u32_e32 v15, vcc, v5, v15, vcc
	v_pack_b32_f16 v28, v66, v35
	v_mov_b32_e32 v30, v27
	global_store_dword v[14:15], v28, off
	v_lshlrev_b64 v[14:15], 2, v[29:30]
	v_add_u32_e32 v29, 0x780, v33
	v_mad_u64_u32 v[27:28], s[4:5], s2, v29, 0
	v_add_u32_e32 v30, 0x300, v0
	v_mul_hi_u32 v33, v30, s1
	v_mad_u64_u32 v[28:29], s[4:5], s3, v29, v[28:29]
	v_sub_f16_e32 v63, v60, v63
	v_lshrrev_b32_e32 v29, 10, v33
	v_mul_u32_u24_e32 v33, 0x780, v29
	v_sub_u32_e32 v30, v30, v33
	v_mad_u32_u24 v33, v29, s0, v30
	v_mad_u64_u32 v[29:30], s[4:5], s2, v33, 0
	v_fma_f16 v60, v60, 2.0, -v63
	v_fma_f16 v43, v43, 2.0, -v61
	v_add_co_u32_e32 v14, vcc, v4, v14
	v_addc_co_u32_e32 v15, vcc, v5, v15, vcc
	v_pack_b32_f16 v31, v60, v43
	global_store_dword v[14:15], v31, off
	v_lshlrev_b64 v[14:15], 2, v[27:28]
	v_mov_b32_e32 v27, v30
	v_mad_u64_u32 v[27:28], s[4:5], s3, v33, v[27:28]
	v_add_co_u32_e32 v14, vcc, v4, v14
	v_addc_co_u32_e32 v15, vcc, v5, v15, vcc
	v_pack_b32_f16 v28, v63, v61
	v_mov_b32_e32 v30, v27
	global_store_dword v[14:15], v28, off
	v_lshlrev_b64 v[14:15], 2, v[29:30]
	v_add_u32_e32 v29, 0x780, v33
	v_mad_u64_u32 v[27:28], s[4:5], s2, v29, 0
	v_add_u32_e32 v30, 0x380, v0
	v_mul_hi_u32 v33, v30, s1
	v_mad_u64_u32 v[28:29], s[4:5], s3, v29, v[28:29]
	v_sub_f16_e32 v65, v64, v65
	v_lshrrev_b32_e32 v29, 10, v33
	v_mul_u32_u24_e32 v33, 0x780, v29
	v_sub_u32_e32 v30, v30, v33
	v_mad_u32_u24 v33, v29, s0, v30
	v_mad_u64_u32 v[29:30], s[4:5], s2, v33, 0
	v_fma_f16 v64, v64, 2.0, -v65
	v_fma_f16 v47, v47, 2.0, -v36
	v_add_co_u32_e32 v14, vcc, v4, v14
	v_addc_co_u32_e32 v15, vcc, v5, v15, vcc
	v_pack_b32_f16 v31, v64, v47
	global_store_dword v[14:15], v31, off
	v_lshlrev_b64 v[14:15], 2, v[27:28]
	v_mov_b32_e32 v27, v30
	v_mad_u64_u32 v[27:28], s[4:5], s3, v33, v[27:28]
	v_add_co_u32_e32 v14, vcc, v4, v14
	v_addc_co_u32_e32 v15, vcc, v5, v15, vcc
	v_pack_b32_f16 v28, v65, v36
	v_mov_b32_e32 v30, v27
	global_store_dword v[14:15], v28, off
	v_lshlrev_b64 v[14:15], 2, v[29:30]
	v_add_u32_e32 v29, 0x780, v33
	v_mad_u64_u32 v[27:28], s[4:5], s2, v29, 0
	v_add_u32_e32 v30, 0x400, v0
	v_mul_hi_u32 v33, v30, s1
	v_mad_u64_u32 v[28:29], s[4:5], s3, v29, v[28:29]
	v_fma_f16 v48, v48, 2.0, -v51
	v_lshrrev_b32_e32 v29, 10, v33
	v_mul_u32_u24_e32 v33, 0x780, v29
	v_sub_u32_e32 v30, v30, v33
	v_mad_u32_u24 v33, v29, s0, v30
	v_mad_u64_u32 v[29:30], s[4:5], s2, v33, 0
	v_add_co_u32_e32 v14, vcc, v4, v14
	v_addc_co_u32_e32 v15, vcc, v5, v15, vcc
	v_pack_b32_f16 v31, v54, v48
	global_store_dword v[14:15], v31, off
	v_lshlrev_b64 v[14:15], 2, v[27:28]
	v_mov_b32_e32 v27, v30
	v_mad_u64_u32 v[27:28], s[4:5], s3, v33, v[27:28]
	v_add_co_u32_e32 v14, vcc, v4, v14
	v_addc_co_u32_e32 v15, vcc, v5, v15, vcc
	v_pack_b32_f16 v28, v53, v51
	v_mov_b32_e32 v30, v27
	global_store_dword v[14:15], v28, off
	v_lshlrev_b64 v[14:15], 2, v[29:30]
	v_add_u32_e32 v29, 0x780, v33
	v_mad_u64_u32 v[27:28], s[4:5], s2, v29, 0
	v_add_u32_e32 v30, 0x480, v0
	v_mul_hi_u32 v33, v30, s1
	v_mad_u64_u32 v[28:29], s[4:5], s3, v29, v[28:29]
	v_add_co_u32_e32 v14, vcc, v4, v14
	v_lshrrev_b32_e32 v29, 10, v33
	v_mul_u32_u24_e32 v33, 0x780, v29
	v_sub_u32_e32 v30, v30, v33
	v_mad_u32_u24 v33, v29, s0, v30
	v_mad_u64_u32 v[29:30], s[4:5], s2, v33, 0
	v_addc_co_u32_e32 v15, vcc, v5, v15, vcc
	v_pack_b32_f16 v31, v50, v49
	global_store_dword v[14:15], v31, off
	v_lshlrev_b64 v[14:15], 2, v[27:28]
	v_mov_b32_e32 v27, v30
	v_mad_u64_u32 v[27:28], s[4:5], s3, v33, v[27:28]
	v_add_co_u32_e32 v14, vcc, v4, v14
	v_addc_co_u32_e32 v15, vcc, v5, v15, vcc
	v_pack_b32_f16 v28, v46, v52
	v_mov_b32_e32 v30, v27
	global_store_dword v[14:15], v28, off
	v_lshlrev_b64 v[14:15], 2, v[29:30]
	v_add_u32_e32 v29, 0x780, v33
	v_mad_u64_u32 v[27:28], s[4:5], s2, v29, 0
	v_add_u32_e32 v30, 0x500, v0
	v_pack_b32_f16 v31, v34, v32
	v_mul_hi_u32 v32, v30, s1
	v_mad_u64_u32 v[28:29], s[4:5], s3, v29, v[28:29]
	v_add_co_u32_e32 v14, vcc, v4, v14
	v_lshrrev_b32_e32 v29, 10, v32
	v_mul_u32_u24_e32 v32, 0x780, v29
	v_sub_u32_e32 v30, v30, v32
	v_mad_u32_u24 v32, v29, s0, v30
	v_mad_u64_u32 v[29:30], s[4:5], s2, v32, 0
	v_addc_co_u32_e32 v15, vcc, v5, v15, vcc
	global_store_dword v[14:15], v31, off
	v_lshlrev_b64 v[14:15], 2, v[27:28]
	v_mov_b32_e32 v27, v30
	v_mad_u64_u32 v[27:28], s[4:5], s3, v32, v[27:28]
	v_add_co_u32_e32 v14, vcc, v4, v14
	v_addc_co_u32_e32 v15, vcc, v5, v15, vcc
	v_mov_b32_e32 v30, v27
	v_add_u32_e32 v27, 0x780, v32
	global_store_dword v[14:15], v10, off
	v_lshlrev_b64 v[10:11], 2, v[29:30]
	v_mad_u64_u32 v[14:15], s[4:5], s2, v27, 0
	v_add_u32_e32 v29, 0x580, v0
	v_mul_hi_u32 v30, v29, s1
	v_add_co_u32_e32 v10, vcc, v4, v10
	v_mov_b32_e32 v9, v15
	v_mad_u64_u32 v[27:28], s[4:5], s3, v27, v[9:10]
	v_lshrrev_b32_e32 v9, 10, v30
	v_mul_u32_u24_e32 v15, 0x780, v9
	v_sub_u32_e32 v15, v29, v15
	v_mad_u32_u24 v30, v9, s0, v15
	v_mad_u64_u32 v[28:29], s[4:5], s2, v30, 0
	v_addc_co_u32_e32 v11, vcc, v5, v11, vcc
	global_store_dword v[10:11], v13, off
	v_mov_b32_e32 v15, v27
	v_mov_b32_e32 v11, v29
	v_lshlrev_b64 v[9:10], 2, v[14:15]
	v_mad_u64_u32 v[13:14], s[4:5], s3, v30, v[11:12]
	v_add_co_u32_e32 v9, vcc, v4, v9
	v_addc_co_u32_e32 v10, vcc, v5, v10, vcc
	v_add_u32_e32 v12, 0x780, v30
	global_store_dword v[9:10], v8, off
	v_mov_b32_e32 v29, v13
	v_mad_u64_u32 v[10:11], s[4:5], s2, v12, 0
	v_add_u32_e32 v13, 0x600, v0
	v_mul_hi_u32 v15, v13, s1
	v_mad_u64_u32 v[11:12], s[4:5], s3, v12, v[11:12]
	v_lshlrev_b64 v[8:9], 2, v[28:29]
	v_lshrrev_b32_e32 v12, 10, v15
	v_mul_u32_u24_e32 v15, 0x780, v12
	v_sub_u32_e32 v13, v13, v15
	v_mad_u32_u24 v15, v12, s0, v13
	v_mad_u64_u32 v[12:13], s[4:5], s2, v15, 0
	v_add_co_u32_e32 v8, vcc, v4, v8
	v_addc_co_u32_e32 v9, vcc, v5, v9, vcc
	v_pack_b32_f16 v14, v25, v26
	global_store_dword v[8:9], v14, off
	v_lshlrev_b64 v[8:9], 2, v[10:11]
	v_mov_b32_e32 v10, v13
	v_mad_u64_u32 v[10:11], s[4:5], s3, v15, v[10:11]
	v_add_co_u32_e32 v8, vcc, v4, v8
	v_addc_co_u32_e32 v9, vcc, v5, v9, vcc
	v_pack_b32_f16 v11, v18, v19
	v_mov_b32_e32 v13, v10
	global_store_dword v[8:9], v11, off
	v_lshlrev_b64 v[8:9], 2, v[12:13]
	v_add_u32_e32 v12, 0x780, v15
	v_mad_u64_u32 v[10:11], s[4:5], s2, v12, 0
	v_add_u32_e32 v13, 0x680, v0
	v_mul_hi_u32 v15, v13, s1
	v_pack_b32_f16 v14, v24, v3
	v_mov_b32_e32 v3, v11
	v_mad_u64_u32 v[11:12], s[4:5], s3, v12, v[3:4]
	v_lshrrev_b32_e32 v3, 10, v15
	v_mul_u32_u24_e32 v12, 0x780, v3
	v_sub_u32_e32 v12, v13, v12
	v_mad_u32_u24 v15, v3, s0, v12
	v_mad_u64_u32 v[12:13], s[4:5], s2, v15, 0
	v_add_co_u32_e32 v8, vcc, v4, v8
	v_addc_co_u32_e32 v9, vcc, v5, v9, vcc
	v_mov_b32_e32 v3, v13
	global_store_dword v[8:9], v14, off
	v_lshlrev_b64 v[8:9], 2, v[10:11]
	v_mad_u64_u32 v[10:11], s[4:5], s3, v15, v[3:4]
	v_add_co_u32_e32 v8, vcc, v4, v8
	v_addc_co_u32_e32 v9, vcc, v5, v9, vcc
	v_pack_b32_f16 v3, v22, v23
	v_mov_b32_e32 v13, v10
	global_store_dword v[8:9], v3, off
	v_lshlrev_b64 v[8:9], 2, v[12:13]
	v_add_u32_e32 v12, 0x780, v15
	v_mad_u64_u32 v[10:11], s[4:5], s2, v12, 0
	v_add_u32_e32 v0, 0x700, v0
	v_add_co_u32_e32 v8, vcc, v4, v8
	v_mov_b32_e32 v3, v11
	v_mad_u64_u32 v[11:12], s[4:5], s3, v12, v[3:4]
	v_mul_hi_u32 v3, v0, s1
	v_addc_co_u32_e32 v9, vcc, v5, v9, vcc
	v_pack_b32_f16 v13, v20, v21
	v_lshrrev_b32_e32 v3, 10, v3
	global_store_dword v[8:9], v13, off
	v_lshlrev_b64 v[8:9], 2, v[10:11]
	v_mul_u32_u24_e32 v10, 0x780, v3
	v_sub_u32_e32 v0, v0, v10
	v_mad_u32_u24 v3, v3, s0, v0
	v_mad_u64_u32 v[10:11], s[0:1], s2, v3, 0
	v_add_co_u32_e32 v8, vcc, v4, v8
	v_mov_b32_e32 v0, v11
	v_mad_u64_u32 v[11:12], s[0:1], s3, v3, v[0:1]
	v_add_u32_e32 v3, 0x780, v3
	v_mad_u64_u32 v[12:13], s[0:1], s2, v3, 0
	v_addc_co_u32_e32 v9, vcc, v5, v9, vcc
	v_pack_b32_f16 v14, v16, v17
	v_mov_b32_e32 v0, v13
	global_store_dword v[8:9], v14, off
	v_lshlrev_b64 v[8:9], 2, v[10:11]
	v_mad_u64_u32 v[10:11], s[0:1], s3, v3, v[0:1]
	v_add_co_u32_e32 v8, vcc, v4, v8
	v_mov_b32_e32 v13, v10
	v_pack_b32_f16 v0, v6, v7
	v_lshlrev_b64 v[6:7], 2, v[12:13]
	v_addc_co_u32_e32 v9, vcc, v5, v9, vcc
	v_add_co_u32_e32 v3, vcc, v4, v6
	global_store_dword v[8:9], v0, off
	v_addc_co_u32_e32 v4, vcc, v5, v7, vcc
	v_pack_b32_f16 v0, v1, v2
	global_store_dword v[3:4], v0, off
.LBB0_15:
	s_endpgm
	.section	.rodata,"a",@progbits
	.p2align	6, 0x0
	.amdhsa_kernel fft_rtc_fwd_len3840_factors_10_6_2_2_2_2_2_2_wgs_128_tpt_128_halfLds_half_op_CI_CI_sbrr_dirReg
		.amdhsa_group_segment_fixed_size 0
		.amdhsa_private_segment_fixed_size 0
		.amdhsa_kernarg_size 104
		.amdhsa_user_sgpr_count 6
		.amdhsa_user_sgpr_private_segment_buffer 1
		.amdhsa_user_sgpr_dispatch_ptr 0
		.amdhsa_user_sgpr_queue_ptr 0
		.amdhsa_user_sgpr_kernarg_segment_ptr 1
		.amdhsa_user_sgpr_dispatch_id 0
		.amdhsa_user_sgpr_flat_scratch_init 0
		.amdhsa_user_sgpr_private_segment_size 0
		.amdhsa_uses_dynamic_stack 0
		.amdhsa_system_sgpr_private_segment_wavefront_offset 0
		.amdhsa_system_sgpr_workgroup_id_x 1
		.amdhsa_system_sgpr_workgroup_id_y 0
		.amdhsa_system_sgpr_workgroup_id_z 0
		.amdhsa_system_sgpr_workgroup_info 0
		.amdhsa_system_vgpr_workitem_id 0
		.amdhsa_next_free_vgpr 153
		.amdhsa_next_free_sgpr 32
		.amdhsa_reserve_vcc 1
		.amdhsa_reserve_flat_scratch 0
		.amdhsa_float_round_mode_32 0
		.amdhsa_float_round_mode_16_64 0
		.amdhsa_float_denorm_mode_32 3
		.amdhsa_float_denorm_mode_16_64 3
		.amdhsa_dx10_clamp 1
		.amdhsa_ieee_mode 1
		.amdhsa_fp16_overflow 0
		.amdhsa_exception_fp_ieee_invalid_op 0
		.amdhsa_exception_fp_denorm_src 0
		.amdhsa_exception_fp_ieee_div_zero 0
		.amdhsa_exception_fp_ieee_overflow 0
		.amdhsa_exception_fp_ieee_underflow 0
		.amdhsa_exception_fp_ieee_inexact 0
		.amdhsa_exception_int_div_zero 0
	.end_amdhsa_kernel
	.text
.Lfunc_end0:
	.size	fft_rtc_fwd_len3840_factors_10_6_2_2_2_2_2_2_wgs_128_tpt_128_halfLds_half_op_CI_CI_sbrr_dirReg, .Lfunc_end0-fft_rtc_fwd_len3840_factors_10_6_2_2_2_2_2_2_wgs_128_tpt_128_halfLds_half_op_CI_CI_sbrr_dirReg
                                        ; -- End function
	.section	.AMDGPU.csdata,"",@progbits
; Kernel info:
; codeLenInByte = 26976
; NumSgprs: 36
; NumVgprs: 153
; ScratchSize: 0
; MemoryBound: 0
; FloatMode: 240
; IeeeMode: 1
; LDSByteSize: 0 bytes/workgroup (compile time only)
; SGPRBlocks: 4
; VGPRBlocks: 38
; NumSGPRsForWavesPerEU: 36
; NumVGPRsForWavesPerEU: 153
; Occupancy: 1
; WaveLimiterHint : 1
; COMPUTE_PGM_RSRC2:SCRATCH_EN: 0
; COMPUTE_PGM_RSRC2:USER_SGPR: 6
; COMPUTE_PGM_RSRC2:TRAP_HANDLER: 0
; COMPUTE_PGM_RSRC2:TGID_X_EN: 1
; COMPUTE_PGM_RSRC2:TGID_Y_EN: 0
; COMPUTE_PGM_RSRC2:TGID_Z_EN: 0
; COMPUTE_PGM_RSRC2:TIDIG_COMP_CNT: 0
	.type	__hip_cuid_a516cc56249dad8d,@object ; @__hip_cuid_a516cc56249dad8d
	.section	.bss,"aw",@nobits
	.globl	__hip_cuid_a516cc56249dad8d
__hip_cuid_a516cc56249dad8d:
	.byte	0                               ; 0x0
	.size	__hip_cuid_a516cc56249dad8d, 1

	.ident	"AMD clang version 19.0.0git (https://github.com/RadeonOpenCompute/llvm-project roc-6.4.0 25133 c7fe45cf4b819c5991fe208aaa96edf142730f1d)"
	.section	".note.GNU-stack","",@progbits
	.addrsig
	.addrsig_sym __hip_cuid_a516cc56249dad8d
	.amdgpu_metadata
---
amdhsa.kernels:
  - .args:
      - .actual_access:  read_only
        .address_space:  global
        .offset:         0
        .size:           8
        .value_kind:     global_buffer
      - .offset:         8
        .size:           8
        .value_kind:     by_value
      - .actual_access:  read_only
        .address_space:  global
        .offset:         16
        .size:           8
        .value_kind:     global_buffer
      - .actual_access:  read_only
        .address_space:  global
        .offset:         24
        .size:           8
        .value_kind:     global_buffer
      - .actual_access:  read_only
        .address_space:  global
        .offset:         32
        .size:           8
        .value_kind:     global_buffer
      - .offset:         40
        .size:           8
        .value_kind:     by_value
      - .actual_access:  read_only
        .address_space:  global
        .offset:         48
        .size:           8
        .value_kind:     global_buffer
      - .actual_access:  read_only
        .address_space:  global
        .offset:         56
        .size:           8
        .value_kind:     global_buffer
      - .offset:         64
        .size:           4
        .value_kind:     by_value
      - .actual_access:  read_only
        .address_space:  global
        .offset:         72
        .size:           8
        .value_kind:     global_buffer
      - .actual_access:  read_only
        .address_space:  global
        .offset:         80
        .size:           8
        .value_kind:     global_buffer
      - .actual_access:  read_only
        .address_space:  global
        .offset:         88
        .size:           8
        .value_kind:     global_buffer
      - .actual_access:  write_only
        .address_space:  global
        .offset:         96
        .size:           8
        .value_kind:     global_buffer
    .group_segment_fixed_size: 0
    .kernarg_segment_align: 8
    .kernarg_segment_size: 104
    .language:       OpenCL C
    .language_version:
      - 2
      - 0
    .max_flat_workgroup_size: 128
    .name:           fft_rtc_fwd_len3840_factors_10_6_2_2_2_2_2_2_wgs_128_tpt_128_halfLds_half_op_CI_CI_sbrr_dirReg
    .private_segment_fixed_size: 0
    .sgpr_count:     36
    .sgpr_spill_count: 0
    .symbol:         fft_rtc_fwd_len3840_factors_10_6_2_2_2_2_2_2_wgs_128_tpt_128_halfLds_half_op_CI_CI_sbrr_dirReg.kd
    .uniform_work_group_size: 1
    .uses_dynamic_stack: false
    .vgpr_count:     153
    .vgpr_spill_count: 0
    .wavefront_size: 64
amdhsa.target:   amdgcn-amd-amdhsa--gfx906
amdhsa.version:
  - 1
  - 2
...

	.end_amdgpu_metadata
